;; amdgpu-corpus repo=ROCm/rocFFT kind=compiled arch=gfx906 opt=O3
	.text
	.amdgcn_target "amdgcn-amd-amdhsa--gfx906"
	.amdhsa_code_object_version 6
	.protected	fft_rtc_fwd_len1190_factors_17_2_5_7_wgs_255_tpt_85_halfLds_half_ip_CI_unitstride_sbrr_R2C_dirReg ; -- Begin function fft_rtc_fwd_len1190_factors_17_2_5_7_wgs_255_tpt_85_halfLds_half_ip_CI_unitstride_sbrr_R2C_dirReg
	.globl	fft_rtc_fwd_len1190_factors_17_2_5_7_wgs_255_tpt_85_halfLds_half_ip_CI_unitstride_sbrr_R2C_dirReg
	.p2align	8
	.type	fft_rtc_fwd_len1190_factors_17_2_5_7_wgs_255_tpt_85_halfLds_half_ip_CI_unitstride_sbrr_R2C_dirReg,@function
fft_rtc_fwd_len1190_factors_17_2_5_7_wgs_255_tpt_85_halfLds_half_ip_CI_unitstride_sbrr_R2C_dirReg: ; @fft_rtc_fwd_len1190_factors_17_2_5_7_wgs_255_tpt_85_halfLds_half_ip_CI_unitstride_sbrr_R2C_dirReg
; %bb.0:
	s_load_dwordx2 s[2:3], s[4:5], 0x50
	s_load_dwordx4 s[8:11], s[4:5], 0x0
	s_load_dwordx2 s[12:13], s[4:5], 0x18
	v_mul_u32_u24_e32 v1, 0x304, v0
	v_lshrrev_b32_e32 v1, 16, v1
	v_mad_u64_u32 v[1:2], s[0:1], s6, 3, v[1:2]
	v_mov_b32_e32 v5, 0
	s_waitcnt lgkmcnt(0)
	v_cmp_lt_u64_e64 s[0:1], s[10:11], 2
	v_mov_b32_e32 v2, v5
	v_mov_b32_e32 v3, 0
	;; [unrolled: 1-line block ×3, first 2 shown]
	s_and_b64 vcc, exec, s[0:1]
	v_mov_b32_e32 v4, 0
	v_mov_b32_e32 v9, v1
	s_cbranch_vccnz .LBB0_8
; %bb.1:
	s_load_dwordx2 s[0:1], s[4:5], 0x10
	s_add_u32 s6, s12, 8
	s_addc_u32 s7, s13, 0
	v_mov_b32_e32 v3, 0
	v_mov_b32_e32 v8, v2
	s_waitcnt lgkmcnt(0)
	s_add_u32 s16, s0, 8
	s_mov_b64 s[14:15], 1
	v_mov_b32_e32 v4, 0
	s_addc_u32 s17, s1, 0
	v_mov_b32_e32 v7, v1
.LBB0_2:                                ; =>This Inner Loop Header: Depth=1
	s_load_dwordx2 s[18:19], s[16:17], 0x0
                                        ; implicit-def: $vgpr9_vgpr10
	s_waitcnt lgkmcnt(0)
	v_or_b32_e32 v6, s19, v8
	v_cmp_ne_u64_e32 vcc, 0, v[5:6]
	s_and_saveexec_b64 s[0:1], vcc
	s_xor_b64 s[20:21], exec, s[0:1]
	s_cbranch_execz .LBB0_4
; %bb.3:                                ;   in Loop: Header=BB0_2 Depth=1
	v_cvt_f32_u32_e32 v2, s18
	v_cvt_f32_u32_e32 v6, s19
	s_sub_u32 s0, 0, s18
	s_subb_u32 s1, 0, s19
	v_mac_f32_e32 v2, 0x4f800000, v6
	v_rcp_f32_e32 v2, v2
	v_mul_f32_e32 v2, 0x5f7ffffc, v2
	v_mul_f32_e32 v6, 0x2f800000, v2
	v_trunc_f32_e32 v6, v6
	v_mac_f32_e32 v2, 0xcf800000, v6
	v_cvt_u32_f32_e32 v6, v6
	v_cvt_u32_f32_e32 v2, v2
	v_mul_lo_u32 v9, s0, v6
	v_mul_hi_u32 v10, s0, v2
	v_mul_lo_u32 v12, s1, v2
	v_mul_lo_u32 v11, s0, v2
	v_add_u32_e32 v9, v10, v9
	v_add_u32_e32 v9, v9, v12
	v_mul_hi_u32 v10, v2, v11
	v_mul_lo_u32 v12, v2, v9
	v_mul_hi_u32 v14, v2, v9
	v_mul_hi_u32 v13, v6, v11
	v_mul_lo_u32 v11, v6, v11
	v_mul_hi_u32 v15, v6, v9
	v_add_co_u32_e32 v10, vcc, v10, v12
	v_addc_co_u32_e32 v12, vcc, 0, v14, vcc
	v_mul_lo_u32 v9, v6, v9
	v_add_co_u32_e32 v10, vcc, v10, v11
	v_addc_co_u32_e32 v10, vcc, v12, v13, vcc
	v_addc_co_u32_e32 v11, vcc, 0, v15, vcc
	v_add_co_u32_e32 v9, vcc, v10, v9
	v_addc_co_u32_e32 v10, vcc, 0, v11, vcc
	v_add_co_u32_e32 v2, vcc, v2, v9
	v_addc_co_u32_e32 v6, vcc, v6, v10, vcc
	v_mul_lo_u32 v9, s0, v6
	v_mul_hi_u32 v10, s0, v2
	v_mul_lo_u32 v11, s1, v2
	v_mul_lo_u32 v12, s0, v2
	v_add_u32_e32 v9, v10, v9
	v_add_u32_e32 v9, v9, v11
	v_mul_lo_u32 v13, v2, v9
	v_mul_hi_u32 v14, v2, v12
	v_mul_hi_u32 v15, v2, v9
	;; [unrolled: 1-line block ×3, first 2 shown]
	v_mul_lo_u32 v12, v6, v12
	v_mul_hi_u32 v10, v6, v9
	v_add_co_u32_e32 v13, vcc, v14, v13
	v_addc_co_u32_e32 v14, vcc, 0, v15, vcc
	v_mul_lo_u32 v9, v6, v9
	v_add_co_u32_e32 v12, vcc, v13, v12
	v_addc_co_u32_e32 v11, vcc, v14, v11, vcc
	v_addc_co_u32_e32 v10, vcc, 0, v10, vcc
	v_add_co_u32_e32 v9, vcc, v11, v9
	v_addc_co_u32_e32 v10, vcc, 0, v10, vcc
	v_add_co_u32_e32 v2, vcc, v2, v9
	v_addc_co_u32_e32 v6, vcc, v6, v10, vcc
	v_mad_u64_u32 v[9:10], s[0:1], v7, v6, 0
	v_mul_hi_u32 v11, v7, v2
	v_add_co_u32_e32 v13, vcc, v11, v9
	v_addc_co_u32_e32 v14, vcc, 0, v10, vcc
	v_mad_u64_u32 v[9:10], s[0:1], v8, v2, 0
	v_mad_u64_u32 v[11:12], s[0:1], v8, v6, 0
	v_add_co_u32_e32 v2, vcc, v13, v9
	v_addc_co_u32_e32 v2, vcc, v14, v10, vcc
	v_addc_co_u32_e32 v6, vcc, 0, v12, vcc
	v_add_co_u32_e32 v2, vcc, v2, v11
	v_addc_co_u32_e32 v6, vcc, 0, v6, vcc
	v_mul_lo_u32 v11, s19, v2
	v_mul_lo_u32 v12, s18, v6
	v_mad_u64_u32 v[9:10], s[0:1], s18, v2, 0
	v_add3_u32 v10, v10, v12, v11
	v_sub_u32_e32 v11, v8, v10
	v_mov_b32_e32 v12, s19
	v_sub_co_u32_e32 v9, vcc, v7, v9
	v_subb_co_u32_e64 v11, s[0:1], v11, v12, vcc
	v_subrev_co_u32_e64 v12, s[0:1], s18, v9
	v_subbrev_co_u32_e64 v11, s[0:1], 0, v11, s[0:1]
	v_cmp_le_u32_e64 s[0:1], s19, v11
	v_cndmask_b32_e64 v13, 0, -1, s[0:1]
	v_cmp_le_u32_e64 s[0:1], s18, v12
	v_cndmask_b32_e64 v12, 0, -1, s[0:1]
	v_cmp_eq_u32_e64 s[0:1], s19, v11
	v_cndmask_b32_e64 v11, v13, v12, s[0:1]
	v_add_co_u32_e64 v12, s[0:1], 2, v2
	v_addc_co_u32_e64 v13, s[0:1], 0, v6, s[0:1]
	v_add_co_u32_e64 v14, s[0:1], 1, v2
	v_addc_co_u32_e64 v15, s[0:1], 0, v6, s[0:1]
	v_subb_co_u32_e32 v10, vcc, v8, v10, vcc
	v_cmp_ne_u32_e64 s[0:1], 0, v11
	v_cmp_le_u32_e32 vcc, s19, v10
	v_cndmask_b32_e64 v11, v15, v13, s[0:1]
	v_cndmask_b32_e64 v13, 0, -1, vcc
	v_cmp_le_u32_e32 vcc, s18, v9
	v_cndmask_b32_e64 v9, 0, -1, vcc
	v_cmp_eq_u32_e32 vcc, s19, v10
	v_cndmask_b32_e32 v9, v13, v9, vcc
	v_cmp_ne_u32_e32 vcc, 0, v9
	v_cndmask_b32_e32 v10, v6, v11, vcc
	v_cndmask_b32_e64 v6, v14, v12, s[0:1]
	v_cndmask_b32_e32 v9, v2, v6, vcc
.LBB0_4:                                ;   in Loop: Header=BB0_2 Depth=1
	s_andn2_saveexec_b64 s[0:1], s[20:21]
	s_cbranch_execz .LBB0_6
; %bb.5:                                ;   in Loop: Header=BB0_2 Depth=1
	v_cvt_f32_u32_e32 v2, s18
	s_sub_i32 s20, 0, s18
	v_rcp_iflag_f32_e32 v2, v2
	v_mul_f32_e32 v2, 0x4f7ffffe, v2
	v_cvt_u32_f32_e32 v2, v2
	v_mul_lo_u32 v6, s20, v2
	v_mul_hi_u32 v6, v2, v6
	v_add_u32_e32 v2, v2, v6
	v_mul_hi_u32 v2, v7, v2
	v_mul_lo_u32 v6, v2, s18
	v_add_u32_e32 v9, 1, v2
	v_sub_u32_e32 v6, v7, v6
	v_subrev_u32_e32 v10, s18, v6
	v_cmp_le_u32_e32 vcc, s18, v6
	v_cndmask_b32_e32 v6, v6, v10, vcc
	v_cndmask_b32_e32 v2, v2, v9, vcc
	v_add_u32_e32 v9, 1, v2
	v_cmp_le_u32_e32 vcc, s18, v6
	v_cndmask_b32_e32 v9, v2, v9, vcc
	v_mov_b32_e32 v10, v5
.LBB0_6:                                ;   in Loop: Header=BB0_2 Depth=1
	s_or_b64 exec, exec, s[0:1]
	v_mul_lo_u32 v2, v10, s18
	v_mul_lo_u32 v6, v9, s19
	v_mad_u64_u32 v[11:12], s[0:1], v9, s18, 0
	s_load_dwordx2 s[0:1], s[6:7], 0x0
	s_add_u32 s14, s14, 1
	v_add3_u32 v2, v12, v6, v2
	v_sub_co_u32_e32 v6, vcc, v7, v11
	v_subb_co_u32_e32 v2, vcc, v8, v2, vcc
	s_waitcnt lgkmcnt(0)
	v_mul_lo_u32 v2, s0, v2
	v_mul_lo_u32 v7, s1, v6
	v_mad_u64_u32 v[3:4], s[0:1], s0, v6, v[3:4]
	s_addc_u32 s15, s15, 0
	s_add_u32 s6, s6, 8
	v_add3_u32 v4, v7, v4, v2
	v_mov_b32_e32 v6, s10
	v_mov_b32_e32 v7, s11
	s_addc_u32 s7, s7, 0
	v_cmp_ge_u64_e32 vcc, s[14:15], v[6:7]
	s_add_u32 s16, s16, 8
	s_addc_u32 s17, s17, 0
	s_cbranch_vccnz .LBB0_8
; %bb.7:                                ;   in Loop: Header=BB0_2 Depth=1
	v_mov_b32_e32 v7, v9
	v_mov_b32_e32 v8, v10
	s_branch .LBB0_2
.LBB0_8:
	s_lshl_b64 s[0:1], s[10:11], 3
	s_add_u32 s0, s12, s0
	s_addc_u32 s1, s13, s1
	s_load_dwordx2 s[0:1], s[0:1], 0x0
	s_mov_b32 s6, 0xaaaaaaab
	v_mul_hi_u32 v5, v1, s6
	s_waitcnt lgkmcnt(0)
	v_mul_lo_u32 v6, s0, v10
	v_mul_lo_u32 v7, s1, v9
	v_mad_u64_u32 v[2:3], s[0:1], s0, v9, v[3:4]
	s_load_dwordx2 s[0:1], s[4:5], 0x20
	s_mov_b32 s4, 0x3030304
	v_lshrrev_b32_e32 v4, 1, v5
	v_mul_hi_u32 v5, v0, s4
	v_lshl_add_u32 v4, v4, 1, v4
	v_sub_u32_e32 v1, v1, v4
	v_add3_u32 v3, v7, v3, v6
	v_mul_u32_u24_e32 v23, 0x4a7, v1
	v_mul_u32_u24_e32 v1, 0x55, v5
	s_waitcnt lgkmcnt(0)
	v_cmp_gt_u64_e64 s[0:1], s[0:1], v[9:10]
	v_sub_u32_e32 v0, v0, v1
	v_lshlrev_b64 v[2:3], 2, v[2:3]
	v_lshlrev_b32_e32 v25, 2, v23
	v_lshlrev_b32_e32 v21, 2, v0
	s_and_saveexec_b64 s[4:5], s[0:1]
	s_cbranch_execz .LBB0_10
; %bb.9:
	v_mov_b32_e32 v1, 0
	v_mov_b32_e32 v4, s3
	v_add_co_u32_e32 v6, vcc, s2, v2
	v_addc_co_u32_e32 v7, vcc, v4, v3, vcc
	v_lshlrev_b64 v[4:5], 2, v[0:1]
	v_add_co_u32_e32 v4, vcc, v6, v4
	v_addc_co_u32_e32 v5, vcc, v7, v5, vcc
	global_load_dword v1, v[4:5], off
	global_load_dword v8, v[4:5], off offset:340
	global_load_dword v9, v[4:5], off offset:680
	;; [unrolled: 1-line block ×7, first 2 shown]
	v_add_co_u32_e32 v6, vcc, 0x1000, v4
	v_addc_co_u32_e32 v7, vcc, 0, v5, vcc
	global_load_dword v15, v[4:5], off offset:2720
	global_load_dword v16, v[4:5], off offset:3060
	global_load_dword v17, v[4:5], off offset:3400
	global_load_dword v18, v[4:5], off offset:3740
	global_load_dword v19, v[4:5], off offset:4080
	global_load_dword v20, v[6:7], off offset:324
	v_add3_u32 v4, 0, v25, v21
	v_add_u32_e32 v5, 0x400, v4
	v_add_u32_e32 v6, 0x600, v4
	;; [unrolled: 1-line block ×4, first 2 shown]
	s_waitcnt vmcnt(7)
	ds_write2_b32 v5, v13, v10 offset0:84 offset1:169
	ds_write2_b32 v4, v1, v8 offset1:85
	s_waitcnt vmcnt(6)
	ds_write2_b32 v4, v9, v14 offset0:170 offset1:255
	ds_write2_b32 v6, v11, v12 offset0:126 offset1:211
	s_waitcnt vmcnt(4)
	ds_write2_b32 v7, v15, v16 offset0:168 offset1:253
	s_waitcnt vmcnt(2)
	ds_write2_b32 v22, v17, v18 offset0:82 offset1:167
	v_add_u32_e32 v1, 0xe00, v4
	s_waitcnt vmcnt(0)
	ds_write2_b32 v1, v19, v20 offset0:124 offset1:209
.LBB0_10:
	s_or_b64 exec, exec, s[4:5]
	v_add_u32_e32 v24, 0, v21
	v_add_u32_e32 v1, v24, v25
	;; [unrolled: 1-line block ×3, first 2 shown]
	s_waitcnt lgkmcnt(0)
	s_barrier
	ds_read2_b32 v[16:17], v1 offset0:70 offset1:140
	ds_read2_b32 v[4:5], v4 offset0:26 offset1:96
	s_mov_b32 s24, 0xbb29
	v_add_u32_e32 v28, 0xc00, v1
	s_movk_i32 s7, 0x3722
	v_add_u32_e32 v31, 0x200, v1
	s_waitcnt lgkmcnt(0)
	v_pk_add_f16 v32, v16, v5 neg_lo:[0,1] neg_hi:[0,1]
	v_pk_add_f16 v35, v5, v16
	v_pk_mul_f16 v6, v32, s24 op_sel_hi:[1,0]
	v_pk_fma_f16 v55, v35, s7, v6 op_sel:[0,0,1] op_sel_hi:[1,0,0]
	v_pk_fma_f16 v56, v35, s7, v6 op_sel:[0,0,1] op_sel_hi:[1,0,0] neg_lo:[0,0,1] neg_hi:[0,0,1]
	ds_read2_b32 v[6:7], v28 offset0:142 offset1:212
	ds_read2_b32 v[18:19], v31 offset0:82 offset1:152
	v_pk_add_f16 v33, v17, v4 neg_lo:[0,1] neg_hi:[0,1]
	s_mov_b32 s6, 0xba62
	v_pk_add_f16 v34, v4, v17
	v_pk_mul_f16 v8, v33, s6 op_sel_hi:[1,0]
	s_mov_b32 s10, 0xb8d2
	s_movk_i32 s29, 0x31e1
	s_waitcnt lgkmcnt(0)
	v_pk_add_f16 v36, v18, v7 neg_lo:[0,1] neg_hi:[0,1]
	v_pk_fma_f16 v57, v34, s10, v8 op_sel:[0,0,1] op_sel_hi:[1,0,0]
	v_pk_fma_f16 v58, v34, s10, v8 op_sel:[0,0,1] op_sel_hi:[1,0,0] neg_lo:[0,0,1] neg_hi:[0,0,1]
	s_mov_b32 s13, 0xbbdd
	v_pk_add_f16 v39, v7, v18
	v_pk_mul_f16 v8, v36, s29 op_sel_hi:[1,0]
	v_pk_fma_f16 v59, v39, s13, v8 op_sel:[0,0,1] op_sel_hi:[1,0,0]
	v_pk_fma_f16 v60, v39, s13, v8 op_sel:[0,0,1] op_sel_hi:[1,0,0] neg_lo:[0,0,1] neg_hi:[0,0,1]
	v_add_u32_e32 v29, 0x400, v1
	ds_read2_b32 v[8:9], v28 offset0:2 offset1:72
	ds_read2_b32 v[14:15], v29 offset0:94 offset1:164
	s_movk_i32 s27, 0x3bb2
	v_pk_add_f16 v37, v19, v6 neg_lo:[0,1] neg_hi:[0,1]
	s_mov_b32 s11, 0xb461
	v_pk_add_f16 v41, v6, v19
	v_pk_mul_f16 v10, v37, s27 op_sel_hi:[1,0]
	s_movk_i32 s12, 0x3964
	s_waitcnt lgkmcnt(0)
	v_pk_add_f16 v38, v14, v9 neg_lo:[0,1] neg_hi:[0,1]
	v_pk_fma_f16 v61, v41, s11, v10 op_sel:[0,0,1] op_sel_hi:[1,0,0]
	v_pk_fma_f16 v62, v41, s11, v10 op_sel:[0,0,1] op_sel_hi:[1,0,0] neg_lo:[0,0,1] neg_hi:[0,0,1]
	s_movk_i32 s14, 0x39e9
	v_pk_add_f16 v42, v9, v14
	v_pk_mul_f16 v10, v38, s12 op_sel_hi:[1,0]
	v_pk_fma_f16 v63, v42, s14, v10 op_sel:[0,0,1] op_sel_hi:[1,0,0]
	v_pk_fma_f16 v64, v42, s14, v10 op_sel:[0,0,1] op_sel_hi:[1,0,0] neg_lo:[0,0,1] neg_hi:[0,0,1]
	s_mov_b32 s25, 0xb5c8
	v_pk_add_f16 v40, v15, v8 neg_lo:[0,1] neg_hi:[0,1]
	v_add_u32_e32 v10, 0x600, v1
	v_add_u32_e32 v30, 0x800, v1
	s_movk_i32 s16, 0x3b76
	v_pk_add_f16 v44, v8, v15
	v_pk_mul_f16 v20, v40, s25 op_sel_hi:[1,0]
	ds_read2_b32 v[12:13], v10 offset0:106 offset1:176
	ds_read2_b32 v[10:11], v30 offset0:118 offset1:188
	v_add_u32_e32 v22, 0, v25
	v_pk_fma_f16 v65, v44, s16, v20 op_sel:[0,0,1] op_sel_hi:[1,0,0]
	v_pk_fma_f16 v66, v44, s16, v20 op_sel:[0,0,1] op_sel_hi:[1,0,0] neg_lo:[0,0,1] neg_hi:[0,0,1]
	v_add_u32_e32 v20, v22, v21
	ds_read_b32 v48, v20
	s_mov_b32 s26, 0xbbf7
	s_waitcnt lgkmcnt(1)
	v_pk_add_f16 v43, v12, v11 neg_lo:[0,1] neg_hi:[0,1]
	s_mov_b32 s17, 0xb836
	v_pk_add_f16 v46, v13, v10 neg_lo:[0,1] neg_hi:[0,1]
	s_movk_i32 s15, 0x2de8
	v_pk_add_f16 v45, v11, v12
	v_pk_mul_f16 v26, v43, s26 op_sel_hi:[1,0]
	s_mov_b32 s18, 0xbacd
	v_pk_add_f16 v47, v10, v13
	v_pk_mul_f16 v27, v46, s17 op_sel_hi:[1,0]
	v_pk_fma_f16 v67, v45, s15, v26 op_sel:[0,0,1] op_sel_hi:[1,0,0]
	v_pk_fma_f16 v68, v45, s15, v26 op_sel:[0,0,1] op_sel_hi:[1,0,0] neg_lo:[0,0,1] neg_hi:[0,0,1]
	s_waitcnt lgkmcnt(0)
	v_add_f16_e32 v26, v48, v55
	v_pk_fma_f16 v69, v47, s18, v27 op_sel:[0,0,1] op_sel_hi:[1,0,0]
	v_pk_fma_f16 v70, v47, s18, v27 op_sel:[0,0,1] op_sel_hi:[1,0,0] neg_lo:[0,0,1] neg_hi:[0,0,1]
	v_add_f16_sdwa v27, v48, v56 dst_sel:DWORD dst_unused:UNUSED_PAD src0_sel:WORD_1 src1_sel:WORD_1
	v_add_f16_e32 v26, v57, v26
	v_add_f16_sdwa v27, v58, v27 dst_sel:DWORD dst_unused:UNUSED_PAD src0_sel:WORD_1 src1_sel:DWORD
	v_add_f16_e32 v26, v59, v26
	v_add_f16_sdwa v27, v60, v27 dst_sel:DWORD dst_unused:UNUSED_PAD src0_sel:WORD_1 src1_sel:DWORD
	;; [unrolled: 2-line block ×6, first 2 shown]
	s_movk_i32 s4, 0x46
	v_add_f16_e32 v26, v69, v26
	v_add_f16_sdwa v27, v70, v27 dst_sel:DWORD dst_unused:UNUSED_PAD src0_sel:WORD_1 src1_sel:DWORD
	v_cmp_gt_u32_e32 vcc, s4, v0
	s_barrier
	s_and_saveexec_b64 s[4:5], vcc
	s_cbranch_execz .LBB0_12
; %bb.11:
	v_lshrrev_b32_e32 v71, 16, v35
	v_mul_f16_e32 v72, 0x2de8, v71
	s_movk_i32 s19, 0x3bf7
	v_lshrrev_b32_e32 v73, 16, v34
	v_fma_f16 v49, v32, s19, v72
	v_mul_f16_e32 v74, 0xbbdd, v73
	v_lshrrev_b32_e32 v75, 16, v39
	v_add_f16_sdwa v49, v48, v49 dst_sel:DWORD dst_unused:UNUSED_PAD src0_sel:WORD_1 src1_sel:DWORD
	v_fma_f16 v50, v33, s29, v74
	v_mul_f16_e32 v76, 0xb461, v75
	s_mov_b32 s20, 0xbbb2
	v_lshrrev_b32_e32 v77, 16, v41
	v_add_f16_e32 v49, v50, v49
	v_fma_f16 v50, v36, s20, v76
	v_mul_f16_e32 v78, 0x3b76, v77
	v_lshrrev_b32_e32 v79, 16, v42
	v_add_f16_e32 v49, v50, v49
	v_fma_f16 v50, v37, s25, v78
	v_mul_f16_e32 v80, 0x3722, v79
	s_movk_i32 s21, 0x3b29
	v_lshrrev_b32_e32 v81, 16, v44
	v_add_f16_e32 v49, v50, v49
	v_fma_f16 v50, v38, s21, v80
	v_mul_f16_e32 v82, 0xbacd, v81
	s_movk_i32 s31, 0x3836
	v_lshrrev_b32_e32 v83, 16, v45
	v_add_f16_e32 v49, v50, v49
	v_fma_f16 v50, v40, s31, v82
	v_mul_f16_e32 v84, 0xb8d2, v83
	v_lshrrev_b32_e32 v85, 16, v47
	v_add_f16_e32 v49, v50, v49
	v_fma_f16 v50, v43, s6, v84
	v_mul_f16_e32 v86, 0x39e9, v85
	s_mov_b32 s28, 0xb964
	v_add_f16_e32 v49, v50, v49
	v_fma_f16 v50, v46, s28, v86
	v_mul_f16_sdwa v87, v32, s26 dst_sel:DWORD dst_unused:UNUSED_PAD src0_sel:WORD_1 src1_sel:DWORD
	s_mov_b32 s22, 0xb1e1
	v_add_f16_e32 v49, v50, v49
	v_fma_f16 v50, v35, s15, v87
	v_mul_f16_sdwa v88, v33, s22 dst_sel:DWORD dst_unused:UNUSED_PAD src0_sel:WORD_1 src1_sel:DWORD
	v_add_f16_e32 v50, v48, v50
	v_fma_f16 v51, v34, s13, v88
	v_mul_f16_sdwa v89, v36, s27 dst_sel:DWORD dst_unused:UNUSED_PAD src0_sel:WORD_1 src1_sel:DWORD
	s_movk_i32 s23, 0x35c8
	v_add_f16_e32 v50, v51, v50
	v_fma_f16 v51, v39, s11, v89
	v_mul_f16_sdwa v90, v37, s23 dst_sel:DWORD dst_unused:UNUSED_PAD src0_sel:WORD_1 src1_sel:DWORD
	v_add_f16_e32 v50, v51, v50
	v_fma_f16 v51, v41, s16, v90
	v_mul_f16_sdwa v91, v38, s24 dst_sel:DWORD dst_unused:UNUSED_PAD src0_sel:WORD_1 src1_sel:DWORD
	;; [unrolled: 3-line block ×3, first 2 shown]
	s_movk_i32 s30, 0x3a62
	v_add_f16_e32 v50, v51, v50
	v_fma_f16 v51, v44, s18, v92
	v_mul_f16_sdwa v93, v43, s30 dst_sel:DWORD dst_unused:UNUSED_PAD src0_sel:WORD_1 src1_sel:DWORD
	v_add_f16_e32 v50, v51, v50
	v_fma_f16 v51, v45, s10, v93
	v_mul_f16_sdwa v94, v46, s12 dst_sel:DWORD dst_unused:UNUSED_PAD src0_sel:WORD_1 src1_sel:DWORD
	v_add_f16_e32 v50, v51, v50
	v_fma_f16 v51, v47, s14, v94
	v_mul_f16_e32 v95, 0xb461, v71
	v_add_f16_e32 v50, v51, v50
	v_fma_f16 v51, v32, s27, v95
	v_mul_f16_e32 v96, 0xbacd, v73
	v_add_f16_sdwa v51, v48, v51 dst_sel:DWORD dst_unused:UNUSED_PAD src0_sel:WORD_1 src1_sel:DWORD
	v_fma_f16 v52, v33, s17, v96
	v_mul_f16_e32 v97, 0x39e9, v75
	v_add_f16_e32 v51, v52, v51
	v_fma_f16 v52, v36, s28, v97
	v_mul_f16_e32 v98, 0x3722, v77
	v_add_f16_e32 v51, v52, v51
	;; [unrolled: 3-line block ×6, first 2 shown]
	v_fma_f16 v52, v46, s30, v102
	v_mul_f16_sdwa v103, v32, s20 dst_sel:DWORD dst_unused:UNUSED_PAD src0_sel:WORD_1 src1_sel:DWORD
	v_add_f16_e32 v51, v52, v51
	v_fma_f16 v52, v35, s11, v103
	v_mul_f16_sdwa v104, v33, s31 dst_sel:DWORD dst_unused:UNUSED_PAD src0_sel:WORD_1 src1_sel:DWORD
	v_add_f16_e32 v52, v48, v52
	;; [unrolled: 3-line block ×8, first 2 shown]
	v_fma_f16 v53, v47, s10, v110
	v_mul_f16_e32 v111, 0xb8d2, v71
	v_add_f16_e32 v52, v53, v52
	v_fma_f16 v53, v32, s30, v111
	v_mul_f16_e32 v112, 0xb461, v73
	v_add_f16_sdwa v53, v48, v53 dst_sel:DWORD dst_unused:UNUSED_PAD src0_sel:WORD_1 src1_sel:DWORD
	v_fma_f16 v54, v33, s20, v112
	v_mul_f16_e32 v113, 0x3b76, v75
	v_add_f16_e32 v53, v54, v53
	v_fma_f16 v54, v36, s23, v113
	v_mul_f16_e32 v114, 0xbacd, v77
	v_add_f16_e32 v53, v54, v53
	;; [unrolled: 3-line block ×6, first 2 shown]
	v_fma_f16 v54, v46, s24, v118
	v_mul_f16_sdwa v119, v32, s6 dst_sel:DWORD dst_unused:UNUSED_PAD src0_sel:WORD_1 src1_sel:DWORD
	v_add_f16_e32 v53, v54, v53
	v_fma_f16 v54, v35, s10, v119
	v_mul_f16_sdwa v120, v33, s27 dst_sel:DWORD dst_unused:UNUSED_PAD src0_sel:WORD_1 src1_sel:DWORD
	v_add_f16_e32 v54, v48, v54
	v_fma_f16 v121, v34, s11, v120
	v_add_f16_e32 v54, v121, v54
	v_mul_f16_sdwa v121, v36, s25 dst_sel:DWORD dst_unused:UNUSED_PAD src0_sel:WORD_1 src1_sel:DWORD
	v_fma_f16 v122, v39, s16, v121
	v_add_f16_e32 v54, v122, v54
	v_mul_f16_sdwa v122, v37, s17 dst_sel:DWORD dst_unused:UNUSED_PAD src0_sel:WORD_1 src1_sel:DWORD
	;; [unrolled: 3-line block ×6, first 2 shown]
	v_fma_f16 v127, v47, s7, v126
	v_add_f16_e32 v54, v127, v54
	v_mul_f16_e32 v127, 0xbacd, v71
	v_fma_f16 v128, v32, s31, v127
	v_mul_f16_e32 v129, 0x3722, v73
	v_add_f16_sdwa v128, v48, v128 dst_sel:DWORD dst_unused:UNUSED_PAD src0_sel:WORD_1 src1_sel:DWORD
	v_fma_f16 v130, v33, s24, v129
	v_add_f16_e32 v128, v130, v128
	v_mul_f16_e32 v130, 0x2de8, v75
	v_fma_f16 v131, v36, s19, v130
	v_add_f16_e32 v128, v131, v128
	v_mul_f16_e32 v131, 0xb8d2, v77
	;; [unrolled: 3-line block ×5, first 2 shown]
	v_fma_f16 v72, v32, s26, v72
	v_fma_f16 v135, v43, s28, v134
	v_add_f16_sdwa v72, v48, v72 dst_sel:DWORD dst_unused:UNUSED_PAD src0_sel:WORD_1 src1_sel:DWORD
	v_fma_f16 v74, v33, s22, v74
	v_add_f16_e32 v128, v135, v128
	v_mul_f16_e32 v135, 0xb461, v85
	v_add_f16_e32 v72, v74, v72
	v_fma_f16 v74, v36, s27, v76
	v_fma_f16 v136, v46, s27, v135
	;; [unrolled: 1-line block ×3, first 2 shown]
	v_add_f16_e32 v72, v74, v72
	v_fma_f16 v74, v37, s23, v78
	s_mov_b32 s27, 0xffff
	v_add_f16_e32 v72, v74, v72
	v_fma_f16 v74, v38, s24, v80
	v_bfi_b32 v55, s27, v56, v55
	v_bfi_b32 v56, s27, v58, v57
	;; [unrolled: 1-line block ×4, first 2 shown]
	v_mul_f16_e32 v63, 0xb964, v32
	v_add_f16_e32 v72, v74, v72
	v_fma_f16 v74, v40, s17, v82
	v_bfi_b32 v60, s27, v66, v65
	v_fma_f16 v64, v71, s14, v63
	v_mul_f16_e32 v65, 0xbbf7, v33
	v_add_f16_e32 v72, v74, v72
	v_fma_f16 v74, v43, s30, v84
	v_add_f16_sdwa v64, v48, v64 dst_sel:DWORD dst_unused:UNUSED_PAD src0_sel:WORD_1 src1_sel:DWORD
	v_fma_f16 v66, v73, s15, v65
	v_add_f16_e32 v72, v74, v72
	v_fma_f16 v74, v46, s12, v86
	v_add_f16_e32 v64, v66, v64
	v_mul_f16_e32 v66, 0xba62, v36
	v_add_f16_e32 v72, v74, v72
	v_fma_f16 v74, v35, s15, -v87
	v_bfi_b32 v58, s27, v62, v61
	v_bfi_b32 v61, s27, v68, v67
	v_fma_f16 v67, v75, s10, v66
	v_add_f16_e32 v74, v48, v74
	v_fma_f16 v76, v34, s13, -v88
	v_add_f16_e32 v64, v67, v64
	v_mul_f16_e32 v67, 0xb1e1, v37
	v_add_f16_e32 v74, v76, v74
	v_fma_f16 v76, v39, s11, -v89
	v_fma_f16 v68, v77, s13, v67
	v_pk_add_f16 v16, v48, v16
	v_add_f16_e32 v74, v76, v74
	v_fma_f16 v76, v41, s16, -v90
	v_add_f16_e32 v64, v68, v64
	v_mul_f16_e32 v68, 0x3836, v38
	v_pk_add_f16 v16, v16, v17
	v_add_f16_e32 v74, v76, v74
	v_fma_f16 v76, v42, s7, -v91
	v_bfi_b32 v62, s27, v70, v69
	v_fma_f16 v69, v79, s18, v68
	v_pk_add_f16 v16, v16, v18
	v_add_f16_e32 v74, v76, v74
	v_fma_f16 v76, v44, s18, -v92
	v_add_f16_e32 v64, v69, v64
	v_mul_f16_e32 v69, 0x3bb2, v40
	v_pk_add_f16 v16, v16, v19
	v_add_f16_e32 v74, v76, v74
	v_fma_f16 v76, v45, s10, -v93
	v_fma_f16 v70, v81, s11, v69
	v_pk_add_f16 v14, v16, v14
	v_add_f16_e32 v74, v76, v74
	v_fma_f16 v76, v47, s14, -v94
	v_add_f16_e32 v64, v70, v64
	v_mul_f16_e32 v70, 0x3b29, v43
	v_pk_add_f16 v14, v14, v15
	v_add_f16_e32 v128, v136, v128
	v_mul_f16_sdwa v136, v32, s17 dst_sel:DWORD dst_unused:UNUSED_PAD src0_sel:WORD_1 src1_sel:DWORD
	v_add_f16_e32 v74, v76, v74
	v_fma_f16 v76, v83, s7, v70
	v_fma_f16 v63, v71, s14, -v63
	v_pk_add_f16 v12, v14, v12
	v_fma_f16 v137, v35, s18, v136
	v_mul_f16_sdwa v138, v33, s21 dst_sel:DWORD dst_unused:UNUSED_PAD src0_sel:WORD_1 src1_sel:DWORD
	v_fma_f16 v95, v32, s20, v95
	v_add_f16_e32 v64, v76, v64
	v_mul_f16_e32 v76, 0x35c8, v46
	v_fma_f16 v65, v73, s15, -v65
	v_add_f16_sdwa v63, v48, v63 dst_sel:DWORD dst_unused:UNUSED_PAD src0_sel:WORD_1 src1_sel:DWORD
	v_pk_add_f16 v12, v12, v13
	v_add_f16_e32 v137, v48, v137
	v_fma_f16 v139, v34, s7, v138
	v_add_f16_sdwa v95, v48, v95 dst_sel:DWORD dst_unused:UNUSED_PAD src0_sel:WORD_1 src1_sel:DWORD
	v_fma_f16 v96, v33, s31, v96
	v_fma_f16 v78, v85, s16, v76
	v_mul_f16_sdwa v17, v32, s25 dst_sel:DWORD dst_unused:UNUSED_PAD src0_sel:WORD_1 src1_sel:DWORD
	v_add_f16_e32 v63, v65, v63
	v_fma_f16 v65, v75, s10, -v66
	v_pk_add_f16 v10, v12, v10
	v_add_f16_e32 v137, v139, v137
	v_mul_f16_sdwa v139, v36, s26 dst_sel:DWORD dst_unused:UNUSED_PAD src0_sel:WORD_1 src1_sel:DWORD
	v_fma_f16 v127, v32, s17, v127
	v_add_f16_e32 v95, v96, v95
	v_fma_f16 v96, v36, s12, v97
	v_add_f16_e32 v64, v78, v64
	v_fma_f16 v78, v35, s16, -v17
	v_mul_f16_sdwa v18, v33, s28 dst_sel:DWORD dst_unused:UNUSED_PAD src0_sel:WORD_1 src1_sel:DWORD
	v_add_f16_e32 v63, v65, v63
	v_fma_f16 v65, v77, s13, -v67
	v_pk_add_f16 v10, v10, v11
	v_fma_f16 v140, v39, s15, v139
	v_add_f16_sdwa v127, v48, v127 dst_sel:DWORD dst_unused:UNUSED_PAD src0_sel:WORD_1 src1_sel:DWORD
	v_fma_f16 v129, v33, s21, v129
	v_fma_f16 v111, v32, s6, v111
	v_add_f16_e32 v95, v96, v95
	v_fma_f16 v96, v37, s24, v98
	v_add_f16_e32 v78, v48, v78
	v_fma_f16 v19, v34, s14, -v18
	v_add_f16_e32 v63, v65, v63
	v_fma_f16 v67, v79, s18, -v68
	v_pk_add_f16 v8, v10, v8
	v_add_f16_e32 v137, v140, v137
	v_mul_f16_sdwa v140, v37, s30 dst_sel:DWORD dst_unused:UNUSED_PAD src0_sel:WORD_1 src1_sel:DWORD
	v_add_f16_e32 v127, v129, v127
	v_fma_f16 v129, v36, s26, v130
	v_add_f16_sdwa v111, v48, v111 dst_sel:DWORD dst_unused:UNUSED_PAD src0_sel:WORD_1 src1_sel:DWORD
	v_add_f16_e32 v95, v96, v95
	v_fma_f16 v96, v38, s22, v99
	v_add_f16_e32 v19, v19, v78
	v_mul_f16_sdwa v78, v36, s24 dst_sel:DWORD dst_unused:UNUSED_PAD src0_sel:WORD_1 src1_sel:DWORD
	v_add_f16_e32 v63, v67, v63
	v_fma_f16 v69, v81, s11, -v69
	v_pk_add_f16 v8, v8, v9
	v_fma_f16 v141, v41, s10, v140
	v_add_f16_e32 v127, v129, v127
	v_fma_f16 v129, v37, s30, v131
	v_add_f16_e32 v111, v112, v111
	;; [unrolled: 2-line block ×3, first 2 shown]
	v_fma_f16 v96, v40, s19, v100
	v_fma_f16 v80, v39, s7, -v78
	s_mov_b32 s24, 0x3b7639e9
	v_add_f16_e32 v63, v69, v63
	v_fma_f16 v70, v83, s7, -v70
	v_pk_add_f16 v6, v8, v6
	v_add_f16_e32 v137, v141, v137
	v_mul_f16_sdwa v141, v38, s25 dst_sel:DWORD dst_unused:UNUSED_PAD src0_sel:WORD_1 src1_sel:DWORD
	v_add_f16_e32 v127, v129, v127
	v_fma_f16 v129, v38, s25, v132
	v_add_f16_e32 v111, v112, v111
	v_fma_f16 v112, v37, s17, v114
	;; [unrolled: 2-line block ×3, first 2 shown]
	v_add_f16_e32 v19, v80, v19
	v_mul_f16_sdwa v80, v37, s26 dst_sel:DWORD dst_unused:UNUSED_PAD src0_sel:WORD_1 src1_sel:DWORD
	v_pk_mul_f16 v65, v35, s24
	s_mov_b32 s24, 0xb964b5c8
	s_mov_b32 s25, 0x39e92de8
	v_add_f16_e32 v63, v70, v63
	v_fma_f16 v75, v85, s16, -v76
	v_pk_add_f16 v6, v6, v7
	v_add_f16_e32 v111, v112, v111
	v_fma_f16 v112, v38, s19, v115
	v_fma_f16 v82, v41, s15, -v80
	v_pk_mul_f16 v68, v34, s25
	s_mov_b32 s25, 0xbbf7b964
	s_mov_b32 s26, 0x3722b8d2
	v_add_f16_e32 v16, v75, v63
	v_pk_fma_f16 v63, v32, s24, v65 op_sel:[0,0,1] op_sel_hi:[1,1,0]
	v_pk_fma_f16 v65, v32, s24, v65 op_sel:[0,0,1] op_sel_hi:[1,1,0] neg_lo:[1,0,0] neg_hi:[1,0,0]
	v_pk_add_f16 v4, v6, v4
	v_add_f16_e32 v111, v112, v111
	v_fma_f16 v112, v40, s28, v116
	v_add_f16_e32 v19, v82, v19
	v_mul_f16_sdwa v82, v38, s20 dst_sel:DWORD dst_unused:UNUSED_PAD src0_sel:WORD_1 src1_sel:DWORD
	v_alignbit_b32 v66, v48, v48, 16
	v_pk_mul_f16 v67, v39, s26
	s_mov_b32 s26, 0xba62bb29
	s_mov_b32 s28, 0x2de8bbdd
	v_pk_fma_f16 v15, v33, s25, v68 op_sel:[0,0,1] op_sel_hi:[1,1,0]
	v_fma_f16 v17, v35, s16, v17
	v_pk_fma_f16 v68, v33, s25, v68 op_sel:[0,0,1] op_sel_hi:[1,1,0] neg_lo:[1,0,0] neg_hi:[1,0,0]
	v_pk_add_f16 v4, v4, v5
	v_bfi_b32 v5, s27, v63, v65
	v_fma_f16 v84, v42, s11, -v82
	v_pk_mul_f16 v71, v41, s28
	s_mov_b32 s28, 0xb1e1bbf7
	s_mov_b32 s29, 0xb461bacd
	v_pk_fma_f16 v75, v36, s26, v67 op_sel:[0,0,1] op_sel_hi:[1,1,0]
	v_add_f16_e32 v17, v48, v17
	v_fma_f16 v18, v34, s14, v18
	v_pk_fma_f16 v67, v36, s26, v67 op_sel:[0,0,1] op_sel_hi:[1,1,0] neg_lo:[1,0,0] neg_hi:[1,0,0]
	v_pk_add_f16 v5, v66, v5
	v_bfi_b32 v6, s27, v15, v68
	v_add_f16_e32 v19, v84, v19
	v_mul_f16_sdwa v84, v40, s6 dst_sel:DWORD dst_unused:UNUSED_PAD src0_sel:WORD_1 src1_sel:DWORD
	v_pk_mul_f16 v69, v42, s29
	s_mov_b32 s29, 0x3836bbb2
	s_mov_b32 s30, 0xb8d2b461
	v_add_f16_e32 v17, v18, v17
	v_pk_fma_f16 v18, v37, s28, v71 op_sel:[0,0,1] op_sel_hi:[1,1,0]
	v_fma_f16 v77, v39, s7, v78
	v_pk_fma_f16 v71, v37, s28, v71 op_sel:[0,0,1] op_sel_hi:[1,1,0] neg_lo:[1,0,0] neg_hi:[1,0,0]
	v_pk_add_f16 v5, v6, v5
	v_bfi_b32 v6, s27, v75, v67
	v_fma_f16 v86, v44, s10, -v84
	v_pk_mul_f16 v73, v44, s30
	s_mov_b32 s30, 0x3bb2ba62
	s_mov_b32 s31, 0xbacd3722
	v_add_f16_e32 v17, v77, v17
	v_pk_fma_f16 v77, v38, s29, v69 op_sel:[0,0,1] op_sel_hi:[1,1,0]
	v_fma_f16 v78, v41, s15, v80
	v_pk_fma_f16 v69, v38, s29, v69 op_sel:[0,0,1] op_sel_hi:[1,1,0] neg_lo:[1,0,0] neg_hi:[1,0,0]
	v_pk_add_f16 v5, v6, v5
	v_bfi_b32 v6, s27, v18, v71
	v_add_f16_e32 v19, v86, v19
	v_mul_f16_sdwa v86, v43, s17 dst_sel:DWORD dst_unused:UNUSED_PAD src0_sel:WORD_1 src1_sel:DWORD
	v_pk_mul_f16 v70, v45, s31
	s_mov_b32 s31, 0x3b29b836
	s_mov_b32 s33, 0xbbdd3b76
	v_add_f16_e32 v17, v78, v17
	v_pk_fma_f16 v78, v40, s30, v73 op_sel:[0,0,1] op_sel_hi:[1,1,0]
	v_fma_f16 v79, v42, s11, v82
	v_pk_fma_f16 v73, v40, s30, v73 op_sel:[0,0,1] op_sel_hi:[1,1,0] neg_lo:[1,0,0] neg_hi:[1,0,0]
	v_pk_add_f16 v5, v6, v5
	v_bfi_b32 v6, s27, v77, v69
	v_fma_f16 v87, v45, s18, -v86
	v_pk_mul_f16 v76, v47, s33
	s_mov_b32 s33, 0x35c8b1e1
	v_add_f16_e32 v17, v79, v17
	v_pk_fma_f16 v79, v43, s31, v70 op_sel:[0,0,1] op_sel_hi:[1,1,0]
	v_fma_f16 v80, v44, s10, v84
	v_pk_fma_f16 v70, v43, s31, v70 op_sel:[0,0,1] op_sel_hi:[1,1,0] neg_lo:[1,0,0] neg_hi:[1,0,0]
	v_pk_add_f16 v5, v6, v5
	v_bfi_b32 v6, s27, v78, v73
	v_add_f16_e32 v19, v87, v19
	v_mul_f16_sdwa v87, v46, s22 dst_sel:DWORD dst_unused:UNUSED_PAD src0_sel:WORD_1 src1_sel:DWORD
	v_add_f16_e32 v17, v80, v17
	v_pk_fma_f16 v80, v46, s33, v76 op_sel:[0,0,1] op_sel_hi:[1,1,0]
	v_pk_fma_f16 v76, v46, s33, v76 op_sel:[0,0,1] op_sel_hi:[1,1,0] neg_lo:[1,0,0] neg_hi:[1,0,0]
	v_pk_add_f16 v5, v6, v5
	v_bfi_b32 v6, s27, v79, v70
	v_add_f16_e32 v127, v129, v127
	v_fma_f16 v129, v40, s22, v133
	v_add_f16_e32 v111, v112, v111
	v_fma_f16 v112, v43, s22, v117
	v_fma_f16 v88, v47, s13, -v87
	v_pk_add_f16 v5, v6, v5
	v_bfi_b32 v6, s27, v80, v76
	v_add_f16_e32 v127, v129, v127
	v_fma_f16 v129, v43, s12, v134
	v_add_f16_e32 v111, v112, v111
	v_fma_f16 v112, v46, s21, v118
	;; [unrolled: 2-line block ×3, first 2 shown]
	v_add_f16_e32 v19, v88, v19
	v_mul_u32_u24_e32 v13, 0x44, v0
	v_pk_add_f16 v5, v6, v5
	v_add_f16_e32 v127, v129, v127
	v_fma_f16 v129, v46, s20, v135
	v_add_f16_e32 v111, v112, v111
	v_fma_f16 v112, v35, s10, -v119
	v_add_f16_e32 v95, v96, v95
	v_fma_f16 v96, v35, s11, -v103
	v_add3_u32 v13, 0, v13, v25
	v_alignbit_b32 v6, v64, v5, 16
	v_pack_b32_f16 v5, v19, v5
	v_add_f16_e32 v127, v129, v127
	v_fma_f16 v129, v35, s18, -v136
	v_add_f16_e32 v112, v48, v112
	v_fma_f16 v113, v34, s11, -v120
	;; [unrolled: 2-line block ×3, first 2 shown]
	ds_write2_b32 v13, v5, v6 offset0:1 offset1:2
	v_pk_add_f16 v5, v48, v55
	v_fma_f16 v142, v42, s16, v141
	v_add_f16_e32 v129, v48, v129
	v_fma_f16 v130, v34, s7, -v138
	v_add_f16_e32 v112, v113, v112
	v_fma_f16 v113, v39, s16, -v121
	v_add_f16_e32 v96, v97, v96
	v_fma_f16 v97, v39, s14, -v105
	v_pk_add_f16 v5, v56, v5
	v_add_f16_e32 v137, v142, v137
	v_mul_f16_sdwa v142, v40, s22 dst_sel:DWORD dst_unused:UNUSED_PAD src0_sel:WORD_1 src1_sel:DWORD
	v_add_f16_e32 v129, v130, v129
	v_fma_f16 v130, v39, s15, -v139
	v_add_f16_e32 v112, v113, v112
	v_fma_f16 v113, v41, s18, -v122
	v_add_f16_e32 v96, v97, v96
	v_fma_f16 v97, v41, s7, -v106
	v_pk_add_f16 v5, v57, v5
	v_fma_f16 v143, v44, s13, v142
	v_add_f16_e32 v129, v130, v129
	v_fma_f16 v130, v41, s10, -v140
	v_add_f16_e32 v112, v113, v112
	v_fma_f16 v113, v42, s15, -v123
	v_add_f16_e32 v96, v97, v96
	v_fma_f16 v97, v42, s13, -v107
	v_pk_add_f16 v5, v58, v5
	v_add_f16_e32 v137, v143, v137
	v_mul_f16_sdwa v143, v43, s12 dst_sel:DWORD dst_unused:UNUSED_PAD src0_sel:WORD_1 src1_sel:DWORD
	v_add_f16_e32 v129, v130, v129
	v_fma_f16 v130, v42, s16, -v141
	v_add_f16_e32 v112, v113, v112
	v_fma_f16 v113, v44, s14, -v124
	v_add_f16_e32 v96, v97, v96
	v_fma_f16 v97, v44, s15, -v108
	;; [unrolled: 17-line block ×3, first 2 shown]
	v_pk_add_f16 v5, v61, v5
	v_add_f16_e32 v129, v130, v129
	v_fma_f16 v130, v47, s11, -v144
	v_add_f16_e32 v112, v113, v112
	v_add_f16_e32 v96, v97, v96
	v_pk_add_f16 v5, v62, v5
	v_pack_b32_f16 v6, v74, v72
	v_add_f16_e32 v129, v130, v129
	ds_write2_b32 v13, v5, v6 offset0:3 offset1:4
	v_pack_b32_f16 v5, v112, v111
	v_pack_b32_f16 v6, v96, v95
	ds_write2_b32 v13, v6, v5 offset0:5 offset1:6
	v_pack_b32_f16 v5, v129, v127
	ds_write2_b32 v13, v4, v5 offset1:7
	v_pk_mul_f16 v4, v35, s13 op_sel_hi:[1,0]
	v_pk_fma_f16 v5, v32, s22, v4 op_sel:[0,0,1] op_sel_hi:[1,0,0] neg_lo:[1,0,0] neg_hi:[1,0,0]
	v_pk_mul_f16 v6, v34, s16 op_sel_hi:[1,0]
	v_pk_add_f16 v5, v66, v5
	v_pk_fma_f16 v7, v33, s23, v6 op_sel:[0,0,1] op_sel_hi:[1,0,0] neg_lo:[1,0,0] neg_hi:[1,0,0]
	v_pk_add_f16 v5, v7, v5
	v_pk_mul_f16 v7, v39, s18 op_sel_hi:[1,0]
	v_pk_fma_f16 v8, v36, s17, v7 op_sel:[0,0,1] op_sel_hi:[1,0,0] neg_lo:[1,0,0] neg_hi:[1,0,0]
	v_pk_add_f16 v5, v8, v5
	v_pk_mul_f16 v8, v41, s14 op_sel_hi:[1,0]
	;; [unrolled: 3-line block ×3, first 2 shown]
	v_pk_fma_f16 v4, v32, s22, v4 op_sel:[0,0,1] op_sel_hi:[1,0,0]
	v_pk_fma_f16 v10, v38, s6, v9 op_sel:[0,0,1] op_sel_hi:[1,0,0] neg_lo:[1,0,0] neg_hi:[1,0,0]
	v_pk_add_f16 v4, v66, v4
	v_pk_fma_f16 v6, v33, s23, v6 op_sel:[0,0,1] op_sel_hi:[1,0,0]
	v_pk_add_f16 v5, v10, v5
	v_pk_mul_f16 v10, v44, s7 op_sel_hi:[1,0]
	v_pk_add_f16 v4, v6, v4
	v_pk_fma_f16 v6, v36, s17, v7 op_sel:[0,0,1] op_sel_hi:[1,0,0]
	v_fma_f16 v81, v45, s18, v86
	v_pk_fma_f16 v11, v40, s21, v10 op_sel:[0,0,1] op_sel_hi:[1,0,0] neg_lo:[1,0,0] neg_hi:[1,0,0]
	v_pk_add_f16 v4, v6, v4
	v_pk_fma_f16 v6, v37, s12, v8 op_sel:[0,0,1] op_sel_hi:[1,0,0]
	v_add_f16_e32 v17, v81, v17
	v_add_f16_sdwa v81, v66, v63 dst_sel:DWORD dst_unused:UNUSED_PAD src0_sel:WORD_1 src1_sel:WORD_1
	v_fma_f16 v82, v47, s13, v87
	v_pk_add_f16 v5, v11, v5
	v_pk_mul_f16 v11, v45, s11 op_sel_hi:[1,0]
	v_pk_add_f16 v4, v6, v4
	v_pk_fma_f16 v6, v38, s6, v9 op_sel:[0,0,1] op_sel_hi:[1,0,0]
	v_add_f16_sdwa v81, v15, v81 dst_sel:DWORD dst_unused:UNUSED_PAD src0_sel:WORD_1 src1_sel:DWORD
	v_add_f16_e32 v17, v82, v17
	v_add_f16_e32 v82, v66, v65
	v_pk_fma_f16 v12, v43, s20, v11 op_sel:[0,0,1] op_sel_hi:[1,0,0] neg_lo:[1,0,0] neg_hi:[1,0,0]
	v_pk_add_f16 v4, v6, v4
	v_pk_fma_f16 v6, v40, s21, v10 op_sel:[0,0,1] op_sel_hi:[1,0,0]
	v_add_f16_sdwa v81, v75, v81 dst_sel:DWORD dst_unused:UNUSED_PAD src0_sel:WORD_1 src1_sel:DWORD
	v_add_f16_e32 v82, v68, v82
	v_pk_add_f16 v5, v12, v5
	v_pk_mul_f16 v12, v47, s15 op_sel_hi:[1,0]
	v_pk_add_f16 v4, v6, v4
	v_pk_fma_f16 v6, v43, s20, v11 op_sel:[0,0,1] op_sel_hi:[1,0,0]
	v_add_f16_sdwa v81, v18, v81 dst_sel:DWORD dst_unused:UNUSED_PAD src0_sel:WORD_1 src1_sel:DWORD
	v_add_f16_e32 v82, v67, v82
	v_pk_fma_f16 v14, v46, s19, v12 op_sel:[0,0,1] op_sel_hi:[1,0,0] neg_lo:[1,0,0] neg_hi:[1,0,0]
	v_pk_add_f16 v4, v6, v4
	v_pk_fma_f16 v6, v46, s19, v12 op_sel:[0,0,1] op_sel_hi:[1,0,0]
	v_fma_f16 v145, v47, s11, v144
	v_add_f16_sdwa v81, v77, v81 dst_sel:DWORD dst_unused:UNUSED_PAD src0_sel:WORD_1 src1_sel:DWORD
	v_add_f16_e32 v82, v71, v82
	v_pk_add_f16 v5, v14, v5
	v_pk_add_f16 v4, v6, v4
	v_add_f16_e32 v137, v145, v137
	v_add_f16_sdwa v81, v78, v81 dst_sel:DWORD dst_unused:UNUSED_PAD src0_sel:WORD_1 src1_sel:DWORD
	v_add_f16_e32 v82, v69, v82
	v_alignbit_b32 v6, v5, v4, 16
	v_alignbit_b32 v4, v4, v5, 16
	v_add_f16_sdwa v81, v79, v81 dst_sel:DWORD dst_unused:UNUSED_PAD src0_sel:WORD_1 src1_sel:DWORD
	v_add_f16_e32 v82, v73, v82
	ds_write2_b32 v13, v4, v6 offset0:8 offset1:9
	v_pack_b32_f16 v4, v54, v53
	v_pack_b32_f16 v5, v137, v128
	v_add_f16_sdwa v81, v80, v81 dst_sel:DWORD dst_unused:UNUSED_PAD src0_sel:WORD_1 src1_sel:DWORD
	v_add_f16_e32 v82, v70, v82
	ds_write2_b32 v13, v5, v4 offset0:10 offset1:11
	v_pack_b32_f16 v4, v50, v49
	v_pack_b32_f16 v5, v52, v51
	s_mov_b32 s6, 0x5040100
	v_add_f16_e32 v82, v76, v82
	ds_write2_b32 v13, v5, v4 offset0:12 offset1:13
	v_pack_b32_f16 v4, v81, v16
	v_perm_b32 v5, v27, v26, s6
	ds_write2_b32 v13, v5, v4 offset0:14 offset1:15
	v_pack_b32_f16 v4, v17, v82
	ds_write_b32 v13, v4 offset:64
.LBB0_12:
	s_or_b64 exec, exec, s[4:5]
	v_add_u32_e32 v4, 0x1a9, v0
	s_mov_b32 s4, 0xf0f1
	v_mul_u32_u24_sdwa v6, v4, s4 dst_sel:DWORD dst_unused:UNUSED_PAD src0_sel:WORD_0 src1_sel:DWORD
	v_lshrrev_b32_e32 v6, 20, v6
	v_add_u32_e32 v5, 0x1fe, v0
	v_mul_lo_u16_e32 v7, 17, v6
	v_sub_u16_e32 v4, v4, v7
	v_mul_u32_u24_sdwa v7, v5, s4 dst_sel:DWORD dst_unused:UNUSED_PAD src0_sel:WORD_0 src1_sel:DWORD
	v_lshrrev_b32_e32 v7, 20, v7
	v_mul_lo_u16_e32 v8, 17, v7
	v_sub_u16_e32 v5, v5, v8
	v_add_u32_e32 v8, 0x154, v0
	v_mul_u32_u24_sdwa v9, v8, s4 dst_sel:DWORD dst_unused:UNUSED_PAD src0_sel:WORD_0 src1_sel:DWORD
	v_lshrrev_b32_e32 v40, 20, v9
	v_mul_lo_u16_e32 v9, 17, v40
	v_sub_u16_e32 v8, v8, v9
	v_lshlrev_b32_e32 v41, 2, v8
	v_add_u32_e32 v8, 0xff, v0
	v_lshlrev_b32_e32 v4, 2, v4
	v_mul_u32_u24_sdwa v10, v8, s4 dst_sel:DWORD dst_unused:UNUSED_PAD src0_sel:WORD_0 src1_sel:DWORD
	s_waitcnt lgkmcnt(0)
	s_barrier
	v_lshlrev_b32_e32 v5, 2, v5
	global_load_dword v19, v4, s[8:9]
	global_load_dword v39, v5, s[8:9]
	s_movk_i32 s5, 0xf1
	v_add_u16_e32 v16, 0xaa, v0
	v_lshrrev_b32_e32 v43, 20, v10
	v_mul_lo_u16_sdwa v9, v16, s5 dst_sel:DWORD dst_unused:UNUSED_PAD src0_sel:BYTE_0 src1_sel:DWORD
	v_mul_lo_u16_e32 v10, 17, v43
	v_add_u16_e32 v32, 0x55, v0
	v_sub_u16_e32 v8, v8, v10
	v_lshrrev_b16_e32 v46, 12, v9
	global_load_dword v42, v41, s[8:9]
	v_lshlrev_b32_e32 v44, 2, v8
	global_load_dword v45, v44, s[8:9]
	v_mul_lo_u16_e32 v8, 17, v46
	v_mul_lo_u16_sdwa v34, v32, s5 dst_sel:DWORD dst_unused:UNUSED_PAD src0_sel:BYTE_0 src1_sel:DWORD
	v_sub_u16_e32 v8, v16, v8
	v_mov_b32_e32 v33, 2
	v_lshrrev_b16_e32 v49, 12, v34
	v_lshlrev_b32_sdwa v47, v33, v8 dst_sel:DWORD dst_unused:UNUSED_PAD src0_sel:DWORD src1_sel:BYTE_0
	global_load_dword v48, v47, s[8:9]
	v_mul_lo_u16_e32 v8, 17, v49
	v_mul_lo_u16_sdwa v35, v0, s5 dst_sel:DWORD dst_unused:UNUSED_PAD src0_sel:BYTE_0 src1_sel:DWORD
	v_sub_u16_e32 v8, v32, v8
	v_lshrrev_b16_e32 v52, 12, v35
	v_lshlrev_b32_sdwa v50, v33, v8 dst_sel:DWORD dst_unused:UNUSED_PAD src0_sel:DWORD src1_sel:BYTE_0
	global_load_dword v51, v50, s[8:9]
	v_mul_lo_u16_e32 v8, 17, v52
	v_sub_u16_e32 v8, v0, v8
	v_lshlrev_b32_sdwa v53, v33, v8 dst_sel:DWORD dst_unused:UNUSED_PAD src0_sel:DWORD src1_sel:BYTE_0
	global_load_dword v54, v53, s[8:9]
	ds_read2_b32 v[8:9], v30 offset0:83 offset1:168
	ds_read2_b32 v[10:11], v1 offset0:85 offset1:170
	v_add_u32_e32 v36, 0xa00, v1
	ds_read2_b32 v[12:13], v31 offset0:127 offset1:212
	ds_read2_b32 v[14:15], v29 offset0:169 offset1:254
	ds_read_b32 v31, v20
	ds_read_b32 v55, v1 offset:4420
	ds_read2_b32 v[17:18], v28 offset0:167 offset1:252
	ds_read2_b32 v[37:38], v36 offset0:125 offset1:210
	s_movk_i32 s5, 0x88
	v_mad_u32_u24 v43, v43, s5, 0
	v_mad_u32_u24 v7, v7, s5, 0
	;; [unrolled: 1-line block ×4, first 2 shown]
	v_add3_u32 v43, v43, v44, v25
	v_add3_u32 v44, v7, v5, v25
	s_mov_b32 s4, 0xffff
	v_add3_u32 v40, v40, v41, v25
	v_add3_u32 v41, v6, v4, v25
	v_mad_u32_u24 v52, v52, s5, 0
	v_mad_u32_u24 v49, v49, s5, 0
	;; [unrolled: 1-line block ×3, first 2 shown]
	v_add3_u32 v52, v52, v53, v25
	v_add3_u32 v49, v49, v50, v25
	v_add3_u32 v46, v46, v47, v25
	s_waitcnt vmcnt(0) lgkmcnt(0)
	s_barrier
	v_pk_mul_f16 v5, v18, v19 op_sel:[0,1]
	v_pk_mul_f16 v4, v55, v39 op_sel:[0,1]
	v_pk_fma_f16 v7, v18, v19, v5 op_sel:[0,0,1] op_sel_hi:[1,1,0] neg_lo:[0,0,1] neg_hi:[0,0,1]
	v_pk_fma_f16 v5, v18, v19, v5 op_sel:[0,0,1] op_sel_hi:[1,0,0]
	v_pk_fma_f16 v6, v55, v39, v4 op_sel:[0,0,1] op_sel_hi:[1,1,0] neg_lo:[0,0,1] neg_hi:[0,0,1]
	v_pk_fma_f16 v4, v55, v39, v4 op_sel:[0,0,1] op_sel_hi:[1,0,0]
	v_bfi_b32 v5, s4, v7, v5
	v_bfi_b32 v4, s4, v6, v4
	v_pk_add_f16 v5, v14, v5 neg_lo:[0,1] neg_hi:[0,1]
	v_pk_add_f16 v7, v15, v4 neg_lo:[0,1] neg_hi:[0,1]
	v_pk_fma_f16 v4, v14, 2.0, v5 op_sel_hi:[1,0,1] neg_lo:[0,0,1] neg_hi:[0,0,1]
	v_pk_mul_f16 v14, v17, v42 op_sel:[0,1]
	v_pk_fma_f16 v6, v15, 2.0, v7 op_sel_hi:[1,0,1] neg_lo:[0,0,1] neg_hi:[0,0,1]
	v_pk_fma_f16 v15, v17, v42, v14 op_sel:[0,0,1] op_sel_hi:[1,1,0] neg_lo:[0,0,1] neg_hi:[0,0,1]
	v_pk_fma_f16 v14, v17, v42, v14 op_sel:[0,0,1] op_sel_hi:[1,0,0]
	v_bfi_b32 v14, s4, v15, v14
	v_pk_mul_f16 v15, v45, v38 op_sel:[0,1]
	v_pk_fma_f16 v17, v45, v38, v15 op_sel:[0,0,1] op_sel_hi:[1,1,0] neg_lo:[0,0,1] neg_hi:[0,0,1]
	v_pk_fma_f16 v15, v45, v38, v15 op_sel:[0,0,1] op_sel_hi:[1,0,0]
	v_bfi_b32 v15, s4, v17, v15
	v_pk_mul_f16 v17, v48, v37 op_sel:[0,1]
	v_pk_fma_f16 v18, v48, v37, v17 op_sel:[0,0,1] op_sel_hi:[1,1,0] neg_lo:[0,0,1] neg_hi:[0,0,1]
	v_pk_fma_f16 v17, v48, v37, v17 op_sel:[0,0,1] op_sel_hi:[1,0,0]
	v_bfi_b32 v17, s4, v18, v17
	v_pk_add_f16 v14, v13, v14 neg_lo:[0,1] neg_hi:[0,1]
	v_pk_mul_f16 v18, v51, v9 op_sel:[0,1]
	v_pk_fma_f16 v19, v51, v9, v18 op_sel:[0,0,1] op_sel_hi:[1,1,0] neg_lo:[0,0,1] neg_hi:[0,0,1]
	v_pk_fma_f16 v9, v51, v9, v18 op_sel:[0,0,1] op_sel_hi:[1,0,0]
	v_bfi_b32 v9, s4, v19, v9
	v_pk_mul_f16 v18, v54, v8 op_sel:[0,1]
	v_pk_fma_f16 v19, v54, v8, v18 op_sel:[0,0,1] op_sel_hi:[1,1,0] neg_lo:[0,0,1] neg_hi:[0,0,1]
	v_pk_fma_f16 v8, v54, v8, v18 op_sel:[0,0,1] op_sel_hi:[1,0,0]
	v_bfi_b32 v8, s4, v19, v8
	v_pk_add_f16 v15, v12, v15 neg_lo:[0,1] neg_hi:[0,1]
	v_pk_add_f16 v17, v11, v17 neg_lo:[0,1] neg_hi:[0,1]
	;; [unrolled: 1-line block ×4, first 2 shown]
	v_pk_fma_f16 v13, v13, 2.0, v14 op_sel_hi:[1,0,1] neg_lo:[0,0,1] neg_hi:[0,0,1]
	v_pk_fma_f16 v12, v12, 2.0, v15 op_sel_hi:[1,0,1] neg_lo:[0,0,1] neg_hi:[0,0,1]
	;; [unrolled: 1-line block ×5, first 2 shown]
	ds_write2_b32 v52, v18, v8 offset1:17
	ds_write2_b32 v49, v10, v9 offset1:17
	;; [unrolled: 1-line block ×7, first 2 shown]
	s_waitcnt lgkmcnt(0)
	s_barrier
	ds_read2_b32 v[8:9], v1 offset0:85 offset1:238
	ds_read2_b32 v[10:11], v29 offset0:67 offset1:220
	;; [unrolled: 1-line block ×4, first 2 shown]
	ds_read_b32 v30, v20
	ds_read_b32 v31, v1 offset:4148
	s_movk_i32 s4, 0x44
	v_cmp_gt_u32_e32 vcc, s4, v0
	v_lshrrev_b32_e32 v18, 16, v6
	v_lshrrev_b32_e32 v19, 16, v7
	;; [unrolled: 1-line block ×4, first 2 shown]
	s_and_saveexec_b64 s[4:5], vcc
	s_cbranch_execz .LBB0_14
; %bb.13:
	v_add_u32_e32 v4, 0x280, v1
	ds_read2_b32 v[6:7], v36 offset0:6 offset1:244
	ds_read2_b32 v[4:5], v4 offset0:10 offset1:248
	ds_read_b32 v26, v1 offset:4488
	s_waitcnt lgkmcnt(2)
	v_lshrrev_b32_e32 v18, 16, v6
	s_waitcnt lgkmcnt(1)
	v_lshrrev_b32_e32 v17, 16, v4
	v_lshrrev_b32_e32 v28, 16, v5
	;; [unrolled: 1-line block ×3, first 2 shown]
	s_waitcnt lgkmcnt(0)
	v_lshrrev_b32_e32 v27, 16, v26
.LBB0_14:
	s_or_b64 exec, exec, s[4:5]
	v_lshrrev_b16_e32 v43, 13, v35
	v_mul_lo_u16_e32 v29, 34, v43
	v_lshrrev_b16_e32 v34, 13, v34
	v_sub_u16_e32 v44, v0, v29
	v_mov_b32_e32 v29, 4
	v_mul_lo_u16_e32 v39, 34, v34
	v_lshlrev_b32_sdwa v35, v29, v44 dst_sel:DWORD dst_unused:UNUSED_PAD src0_sel:DWORD src1_sel:BYTE_0
	v_sub_u16_e32 v32, v32, v39
	global_load_dwordx4 v[35:38], v35, s[8:9] offset:68
	v_lshlrev_b32_sdwa v39, v29, v32 dst_sel:DWORD dst_unused:UNUSED_PAD src0_sel:DWORD src1_sel:BYTE_0
	global_load_dwordx4 v[39:42], v39, s[8:9] offset:68
	s_waitcnt lgkmcnt(5)
	v_lshrrev_b32_e32 v47, 16, v9
	s_waitcnt lgkmcnt(4)
	v_lshrrev_b32_e32 v48, 16, v11
	;; [unrolled: 2-line block ×4, first 2 shown]
	v_lshrrev_b32_e32 v51, 16, v10
	v_lshlrev_b32_sdwa v44, v33, v44 dst_sel:DWORD dst_unused:UNUSED_PAD src0_sel:DWORD src1_sel:BYTE_0
	v_lshlrev_b32_sdwa v32, v33, v32 dst_sel:DWORD dst_unused:UNUSED_PAD src0_sel:DWORD src1_sel:BYTE_0
	v_lshrrev_b32_e32 v52, 16, v12
	v_lshrrev_b32_e32 v53, 16, v14
	s_waitcnt lgkmcnt(0)
	v_lshrrev_b32_e32 v54, 16, v31
	v_lshrrev_b32_e32 v45, 16, v30
	s_movk_i32 s10, 0x3b9c
	s_mov_b32 s12, 0xbb9c
	s_movk_i32 s7, 0x38b4
	s_mov_b32 s11, 0xb8b4
	s_movk_i32 s6, 0x34f2
	v_lshrrev_b32_e32 v46, 16, v8
	s_movk_i32 s13, 0x2a8
	s_waitcnt vmcnt(0)
	s_barrier
	v_mul_f16_sdwa v33, v35, v47 dst_sel:DWORD dst_unused:UNUSED_PAD src0_sel:WORD_1 src1_sel:DWORD
	v_mul_f16_sdwa v56, v36, v48 dst_sel:DWORD dst_unused:UNUSED_PAD src0_sel:WORD_1 src1_sel:DWORD
	;; [unrolled: 1-line block ×11, first 2 shown]
	v_fma_f16 v9, v35, v9, -v33
	v_fma_f16 v11, v36, v11, -v56
	v_fma_f16 v13, v37, v13, -v58
	v_fma_f16 v15, v38, v15, -v60
	v_mul_f16_sdwa v64, v40, v52 dst_sel:DWORD dst_unused:UNUSED_PAD src0_sel:WORD_1 src1_sel:DWORD
	v_mul_f16_sdwa v66, v41, v53 dst_sel:DWORD dst_unused:UNUSED_PAD src0_sel:WORD_1 src1_sel:DWORD
	;; [unrolled: 1-line block ×5, first 2 shown]
	v_fma_f16 v33, v35, v47, v55
	v_fma_f16 v35, v36, v48, v57
	;; [unrolled: 1-line block ×4, first 2 shown]
	v_fma_f16 v10, v39, v10, -v62
	v_fma_f16 v38, v39, v51, v63
	v_fma_f16 v39, v40, v52, v65
	v_add_f16_e32 v47, v11, v13
	v_add_f16_e32 v52, v9, v15
	v_fma_f16 v12, v40, v12, -v64
	v_fma_f16 v14, v41, v14, -v66
	v_fma_f16 v40, v41, v53, v67
	v_fma_f16 v31, v42, v31, -v68
	v_fma_f16 v41, v42, v54, v69
	v_add_f16_e32 v42, v30, v9
	v_sub_f16_e32 v48, v33, v37
	v_sub_f16_e32 v49, v35, v36
	;; [unrolled: 1-line block ×6, first 2 shown]
	v_fma_f16 v47, v47, -0.5, v30
	v_fma_f16 v30, v52, -0.5, v30
	v_add_f16_e32 v50, v50, v51
	v_add_f16_e32 v51, v53, v54
	v_fma_f16 v53, v48, s10, v47
	v_fma_f16 v47, v48, s12, v47
	v_fma_f16 v54, v49, s12, v30
	v_fma_f16 v30, v49, s10, v30
	v_fma_f16 v53, v49, s7, v53
	v_fma_f16 v47, v49, s11, v47
	v_fma_f16 v49, v48, s7, v54
	v_fma_f16 v30, v48, s11, v30
	v_add_f16_e32 v55, v45, v33
	v_add_f16_e32 v42, v42, v11
	v_fma_f16 v49, v51, s6, v49
	v_fma_f16 v30, v51, s6, v30
	v_add_f16_e32 v51, v35, v36
	v_add_f16_e32 v52, v55, v35
	;; [unrolled: 1-line block ×3, first 2 shown]
	v_fma_f16 v51, v51, -0.5, v45
	v_sub_f16_e32 v9, v9, v15
	v_add_f16_e32 v52, v52, v36
	v_add_f16_e32 v42, v42, v15
	v_fma_f16 v15, v9, s12, v51
	v_sub_f16_e32 v11, v11, v13
	v_fma_f16 v48, v50, s6, v53
	v_fma_f16 v47, v50, s6, v47
	v_add_f16_e32 v50, v52, v37
	v_fma_f16 v13, v11, s11, v15
	v_sub_f16_e32 v15, v33, v35
	v_sub_f16_e32 v52, v37, v36
	v_fma_f16 v51, v9, s10, v51
	v_add_f16_e32 v15, v15, v52
	v_fma_f16 v51, v11, s7, v51
	v_fma_f16 v13, v15, s6, v13
	;; [unrolled: 1-line block ×3, first 2 shown]
	v_add_f16_e32 v51, v33, v37
	v_fma_f16 v45, v51, -0.5, v45
	v_fma_f16 v51, v11, s10, v45
	v_sub_f16_e32 v33, v35, v33
	v_sub_f16_e32 v35, v36, v37
	v_fma_f16 v11, v11, s12, v45
	v_fma_f16 v51, v9, s11, v51
	v_add_f16_e32 v33, v33, v35
	v_fma_f16 v9, v9, s7, v11
	v_fma_f16 v35, v33, s6, v51
	v_fma_f16 v9, v33, s6, v9
	v_add_f16_e32 v33, v12, v14
	v_fma_f16 v33, v33, -0.5, v8
	v_sub_f16_e32 v36, v38, v41
	v_fma_f16 v37, v36, s10, v33
	v_sub_f16_e32 v45, v39, v40
	v_sub_f16_e32 v51, v10, v12
	;; [unrolled: 1-line block ×3, first 2 shown]
	v_fma_f16 v33, v36, s12, v33
	v_fma_f16 v37, v45, s7, v37
	v_add_f16_e32 v51, v51, v52
	v_fma_f16 v33, v45, s11, v33
	v_fma_f16 v37, v51, s6, v37
	;; [unrolled: 1-line block ×3, first 2 shown]
	v_add_f16_e32 v51, v10, v31
	v_add_f16_e32 v11, v8, v10
	v_fma_f16 v8, v51, -0.5, v8
	v_add_f16_e32 v11, v11, v12
	v_fma_f16 v51, v45, s12, v8
	v_fma_f16 v8, v45, s10, v8
	v_add_f16_e32 v45, v39, v40
	v_add_f16_e32 v11, v11, v14
	v_sub_f16_e32 v52, v12, v10
	v_sub_f16_e32 v53, v14, v31
	v_fma_f16 v45, v45, -0.5, v46
	v_sub_f16_e32 v10, v10, v31
	v_add_f16_e32 v11, v11, v31
	v_fma_f16 v51, v36, s7, v51
	v_add_f16_e32 v52, v52, v53
	v_fma_f16 v8, v36, s11, v8
	v_fma_f16 v31, v10, s12, v45
	v_sub_f16_e32 v12, v12, v14
	v_fma_f16 v51, v52, s6, v51
	v_fma_f16 v8, v52, s6, v8
	;; [unrolled: 1-line block ×3, first 2 shown]
	v_sub_f16_e32 v31, v38, v39
	v_sub_f16_e32 v52, v41, v40
	v_fma_f16 v45, v10, s10, v45
	v_add_f16_e32 v31, v31, v52
	v_fma_f16 v45, v12, s7, v45
	v_fma_f16 v14, v31, s6, v14
	;; [unrolled: 1-line block ×3, first 2 shown]
	v_add_f16_e32 v45, v38, v41
	v_add_f16_e32 v36, v46, v38
	v_fma_f16 v45, v45, -0.5, v46
	v_add_f16_e32 v36, v36, v39
	v_fma_f16 v46, v12, s10, v45
	v_sub_f16_e32 v38, v39, v38
	v_sub_f16_e32 v39, v40, v41
	v_fma_f16 v12, v12, s12, v45
	v_fma_f16 v46, v10, s11, v46
	v_add_f16_e32 v38, v38, v39
	v_fma_f16 v10, v10, s7, v12
	v_mad_u32_u24 v12, v43, s13, 0
	v_fma_f16 v39, v38, s6, v46
	v_fma_f16 v10, v38, s6, v10
	v_add3_u32 v12, v12, v44, v25
	v_pack_b32_f16 v38, v42, v50
	v_pack_b32_f16 v13, v48, v13
	ds_write2_b32 v12, v38, v13 offset1:34
	v_pack_b32_f16 v13, v49, v35
	v_pack_b32_f16 v9, v30, v9
	v_add_f16_e32 v36, v36, v40
	ds_write2_b32 v12, v13, v9 offset0:68 offset1:102
	v_pack_b32_f16 v9, v47, v15
	v_add_f16_e32 v36, v36, v41
	ds_write_b32 v12, v9 offset:544
	v_mad_u32_u24 v9, v34, s13, 0
	v_add3_u32 v9, v9, v32, v25
	v_pack_b32_f16 v11, v11, v36
	v_pack_b32_f16 v12, v37, v14
	ds_write2_b32 v9, v11, v12 offset1:34
	v_pack_b32_f16 v11, v51, v39
	v_pack_b32_f16 v8, v8, v10
	ds_write2_b32 v9, v11, v8 offset0:68 offset1:102
	v_pack_b32_f16 v8, v33, v31
	ds_write_b32 v9, v8 offset:544
	s_and_saveexec_b64 s[4:5], vcc
	s_cbranch_execz .LBB0_16
; %bb.15:
	s_movk_i32 s14, 0xf1
	v_mul_lo_u16_sdwa v8, v16, s14 dst_sel:DWORD dst_unused:UNUSED_PAD src0_sel:BYTE_0 src1_sel:DWORD
	v_lshrrev_b16_e32 v12, 13, v8
	v_mul_lo_u16_e32 v8, 34, v12
	v_sub_u16_e32 v13, v16, v8
	v_lshlrev_b32_sdwa v8, v29, v13 dst_sel:DWORD dst_unused:UNUSED_PAD src0_sel:DWORD src1_sel:BYTE_0
	global_load_dwordx4 v[8:11], v8, s[8:9] offset:68
	v_mov_b32_e32 v14, 2
	v_mad_u32_u24 v12, v12, s13, 0
	v_lshlrev_b32_sdwa v13, v14, v13 dst_sel:DWORD dst_unused:UNUSED_PAD src0_sel:DWORD src1_sel:BYTE_0
	v_add3_u32 v12, v12, v13, v25
	s_waitcnt vmcnt(0)
	v_mul_f16_sdwa v13, v6, v9 dst_sel:DWORD dst_unused:UNUSED_PAD src0_sel:DWORD src1_sel:WORD_1
	v_mul_f16_sdwa v14, v5, v8 dst_sel:DWORD dst_unused:UNUSED_PAD src0_sel:DWORD src1_sel:WORD_1
	;; [unrolled: 1-line block ×8, first 2 shown]
	v_fma_f16 v13, v18, v9, v13
	v_fma_f16 v14, v28, v8, v14
	;; [unrolled: 1-line block ×4, first 2 shown]
	v_fma_f16 v5, v5, v8, -v25
	v_fma_f16 v8, v26, v11, -v29
	;; [unrolled: 1-line block ×4, first 2 shown]
	v_sub_f16_e32 v9, v13, v14
	v_sub_f16_e32 v10, v15, v16
	v_add_f16_e32 v18, v14, v16
	v_sub_f16_e32 v25, v6, v5
	v_sub_f16_e32 v26, v7, v8
	v_add_f16_e32 v27, v5, v8
	v_add_f16_e32 v32, v13, v15
	;; [unrolled: 1-line block ×3, first 2 shown]
	v_sub_f16_e32 v11, v5, v8
	v_sub_f16_e32 v19, v6, v7
	v_sub_f16_e32 v28, v13, v15
	v_sub_f16_e32 v29, v14, v16
	v_sub_f16_e32 v30, v14, v13
	v_sub_f16_e32 v31, v16, v15
	v_sub_f16_e32 v33, v5, v6
	v_add_f16_e32 v14, v17, v14
	v_add_f16_e32 v5, v4, v5
	v_add_f16_e32 v9, v9, v10
	v_fma_f16 v10, v18, -0.5, v17
	v_add_f16_e32 v18, v25, v26
	v_fma_f16 v25, v27, -0.5, v4
	v_fma_f16 v17, v32, -0.5, v17
	;; [unrolled: 1-line block ×3, first 2 shown]
	v_sub_f16_e32 v34, v8, v7
	v_add_f16_e32 v26, v30, v31
	v_add_f16_e32 v13, v14, v13
	;; [unrolled: 1-line block ×3, first 2 shown]
	v_fma_f16 v6, v19, s12, v10
	v_fma_f16 v14, v28, s10, v25
	;; [unrolled: 1-line block ×6, first 2 shown]
	v_add_f16_e32 v27, v33, v34
	v_add_f16_e32 v13, v13, v15
	;; [unrolled: 1-line block ×3, first 2 shown]
	v_fma_f16 v7, v11, s10, v17
	v_fma_f16 v4, v29, s12, v4
	;; [unrolled: 1-line block ×8, first 2 shown]
	v_add_f16_e32 v13, v13, v16
	v_add_f16_e32 v5, v5, v8
	v_fma_f16 v7, v19, s7, v7
	v_fma_f16 v4, v28, s11, v4
	;; [unrolled: 1-line block ×10, first 2 shown]
	v_pack_b32_f16 v5, v5, v13
	v_pack_b32_f16 v11, v14, v11
	;; [unrolled: 1-line block ×5, first 2 shown]
	ds_write2_b32 v12, v5, v11 offset1:34
	ds_write2_b32 v12, v9, v6 offset0:68 offset1:102
	ds_write_b32 v12, v4 offset:544
.LBB0_16:
	s_or_b64 exec, exec, s[4:5]
	v_mul_u32_u24_e32 v4, 6, v0
	v_lshlrev_b32_e32 v16, 2, v4
	s_waitcnt lgkmcnt(0)
	s_barrier
	global_load_dwordx4 v[4:7], v16, s[8:9] offset:612
	global_load_dwordx2 v[12:13], v16, s[8:9] offset:628
	global_load_dwordx4 v[8:11], v16, s[8:9] offset:2652
	global_load_dwordx2 v[14:15], v16, s[8:9] offset:2668
	v_lshl_add_u32 v31, v23, 2, v24
	v_add_u32_e32 v23, 0x400, v1
	v_add_u32_e32 v27, 0x800, v1
	;; [unrolled: 1-line block ×3, first 2 shown]
	ds_read2_b32 v[16:17], v1 offset0:85 offset1:170
	v_add_u32_e32 v32, 0x200, v1
	v_add_u32_e32 v33, 0xc00, v1
	ds_read_b32 v34, v20
	ds_read_b32 v35, v1 offset:4420
	ds_read2_b32 v[18:19], v32 offset0:127 offset1:212
	ds_read2_b32 v[23:24], v23 offset0:169 offset1:254
	;; [unrolled: 1-line block ×5, first 2 shown]
	s_waitcnt lgkmcnt(4)
	v_lshrrev_b32_e32 v44, 16, v19
	v_lshrrev_b32_e32 v37, 16, v17
	s_waitcnt lgkmcnt(2)
	v_lshrrev_b32_e32 v38, 16, v26
	v_lshrrev_b32_e32 v36, 16, v35
	;; [unrolled: 3-line block ×3, first 2 shown]
	v_lshrrev_b32_e32 v46, 16, v28
	v_lshrrev_b32_e32 v39, 16, v18
	;; [unrolled: 1-line block ×6, first 2 shown]
	s_movk_i32 s4, 0x2b26
	s_movk_i32 s5, 0x3b00
	s_mov_b32 s6, 0xbcab
	s_movk_i32 s7, 0x39e0
	s_mov_b32 s10, 0xb9e0
	;; [unrolled: 2-line block ×3, first 2 shown]
	s_movk_i32 s13, 0x370e
	s_waitcnt vmcnt(0)
	s_barrier
	v_cmp_ne_u32_e32 vcc, 0, v0
	v_mul_f16_sdwa v48, v4, v37 dst_sel:DWORD dst_unused:UNUSED_PAD src0_sel:WORD_1 src1_sel:DWORD
	v_mul_f16_sdwa v49, v4, v17 dst_sel:DWORD dst_unused:UNUSED_PAD src0_sel:WORD_1 src1_sel:DWORD
	;; [unrolled: 1-line block ×6, first 2 shown]
	v_mul_f16_sdwa v58, v38, v13 dst_sel:DWORD dst_unused:UNUSED_PAD src0_sel:DWORD src1_sel:WORD_1
	v_mul_f16_sdwa v59, v26, v13 dst_sel:DWORD dst_unused:UNUSED_PAD src0_sel:DWORD src1_sel:WORD_1
	v_mul_f16_sdwa v52, v6, v45 dst_sel:DWORD dst_unused:UNUSED_PAD src0_sel:WORD_1 src1_sel:DWORD
	v_mul_f16_sdwa v53, v6, v24 dst_sel:DWORD dst_unused:UNUSED_PAD src0_sel:WORD_1 src1_sel:DWORD
	;; [unrolled: 1-line block ×4, first 2 shown]
	v_mul_f16_sdwa v70, v36, v15 dst_sel:DWORD dst_unused:UNUSED_PAD src0_sel:DWORD src1_sel:WORD_1
	v_mul_f16_sdwa v71, v35, v15 dst_sel:DWORD dst_unused:UNUSED_PAD src0_sel:DWORD src1_sel:WORD_1
	v_fma_f16 v17, v4, v17, -v48
	v_fma_f16 v4, v4, v37, v49
	v_fma_f16 v19, v5, v19, -v50
	v_fma_f16 v5, v5, v44, v51
	;; [unrolled: 2-line block ×7, first 2 shown]
	v_add_f16_e32 v36, v17, v26
	v_add_f16_e32 v37, v4, v13
	v_sub_f16_e32 v17, v17, v26
	v_sub_f16_e32 v4, v4, v13
	v_add_f16_e32 v13, v19, v30
	v_add_f16_e32 v26, v5, v12
	v_mul_f16_sdwa v60, v39, v8 dst_sel:DWORD dst_unused:UNUSED_PAD src0_sel:DWORD src1_sel:WORD_1
	v_mul_f16_sdwa v61, v18, v8 dst_sel:DWORD dst_unused:UNUSED_PAD src0_sel:DWORD src1_sel:WORD_1
	v_mul_f16_sdwa v62, v40, v9 dst_sel:DWORD dst_unused:UNUSED_PAD src0_sel:DWORD src1_sel:WORD_1
	v_mul_f16_sdwa v63, v23, v9 dst_sel:DWORD dst_unused:UNUSED_PAD src0_sel:DWORD src1_sel:WORD_1
	v_mul_f16_sdwa v64, v41, v10 dst_sel:DWORD dst_unused:UNUSED_PAD src0_sel:DWORD src1_sel:WORD_1
	v_mul_f16_sdwa v65, v27, v10 dst_sel:DWORD dst_unused:UNUSED_PAD src0_sel:DWORD src1_sel:WORD_1
	v_mul_f16_sdwa v66, v42, v11 dst_sel:DWORD dst_unused:UNUSED_PAD src0_sel:DWORD src1_sel:WORD_1
	v_mul_f16_sdwa v67, v29, v11 dst_sel:DWORD dst_unused:UNUSED_PAD src0_sel:DWORD src1_sel:WORD_1
	v_mul_f16_sdwa v68, v43, v14 dst_sel:DWORD dst_unused:UNUSED_PAD src0_sel:DWORD src1_sel:WORD_1
	v_mul_f16_sdwa v69, v25, v14 dst_sel:DWORD dst_unused:UNUSED_PAD src0_sel:DWORD src1_sel:WORD_1
	v_sub_f16_e32 v19, v19, v30
	v_sub_f16_e32 v5, v5, v12
	v_add_f16_e32 v12, v24, v28
	v_add_f16_e32 v30, v6, v7
	v_sub_f16_e32 v24, v28, v24
	v_sub_f16_e32 v6, v7, v6
	v_add_f16_e32 v7, v13, v36
	v_add_f16_e32 v28, v26, v37
	v_fma_f16 v18, v18, v8, -v60
	v_fma_f16 v8, v39, v8, v61
	v_fma_f16 v23, v23, v9, -v62
	v_fma_f16 v9, v40, v9, v63
	v_fma_f16 v27, v27, v10, -v64
	v_fma_f16 v10, v41, v10, v65
	v_fma_f16 v29, v29, v11, -v66
	v_fma_f16 v11, v42, v11, v67
	v_fma_f16 v25, v25, v14, -v68
	v_fma_f16 v14, v43, v14, v69
	v_sub_f16_e32 v38, v13, v36
	v_sub_f16_e32 v39, v26, v37
	;; [unrolled: 1-line block ×6, first 2 shown]
	v_add_f16_e32 v40, v24, v19
	v_add_f16_e32 v41, v6, v5
	v_sub_f16_e32 v42, v24, v19
	v_sub_f16_e32 v43, v6, v5
	;; [unrolled: 1-line block ×4, first 2 shown]
	v_add_f16_e32 v7, v12, v7
	v_add_f16_e32 v12, v30, v28
	v_sub_f16_e32 v24, v17, v24
	v_sub_f16_e32 v6, v4, v6
	v_add_f16_e32 v17, v40, v17
	v_add_f16_e32 v4, v41, v4
	;; [unrolled: 1-line block ×3, first 2 shown]
	v_add_f16_sdwa v30, v12, v34 dst_sel:DWORD dst_unused:UNUSED_PAD src0_sel:DWORD src1_sel:WORD_1
	v_mul_f16_e32 v34, 0x3a52, v36
	v_mul_f16_e32 v36, 0x3a52, v37
	;; [unrolled: 1-line block ×8, first 2 shown]
	v_fma_f16 v7, v7, s6, v28
	v_fma_f16 v12, v12, s6, v30
	;; [unrolled: 1-line block ×4, first 2 shown]
	v_fma_f16 v37, v38, s7, -v37
	v_fma_f16 v40, v39, s7, -v40
	;; [unrolled: 1-line block ×4, first 2 shown]
	v_fma_f16 v38, v24, s11, v41
	v_fma_f16 v39, v6, s11, v42
	v_fma_f16 v19, v19, s5, -v41
	v_fma_f16 v5, v5, s5, -v42
	;; [unrolled: 1-line block ×4, first 2 shown]
	v_add_f16_e32 v13, v13, v7
	v_add_f16_e32 v26, v26, v12
	;; [unrolled: 1-line block ×6, first 2 shown]
	v_fma_f16 v34, v17, s13, v38
	v_fma_f16 v36, v4, s13, v39
	;; [unrolled: 1-line block ×6, first 2 shown]
	v_add_f16_e32 v6, v36, v13
	v_sub_f16_e32 v24, v26, v34
	v_add_f16_e32 v38, v4, v7
	v_sub_f16_e32 v39, v12, v17
	v_sub_f16_e32 v4, v7, v4
	v_add_f16_e32 v7, v17, v12
	v_sub_f16_e32 v12, v13, v36
	v_add_f16_e32 v13, v34, v26
	v_add_f16_e32 v17, v18, v35
	;; [unrolled: 1-line block ×3, first 2 shown]
	v_sub_f16_e32 v8, v8, v15
	v_add_f16_e32 v15, v23, v25
	v_add_f16_e32 v34, v9, v14
	v_sub_f16_e32 v18, v18, v35
	v_sub_f16_e32 v23, v23, v25
	;; [unrolled: 1-line block ×3, first 2 shown]
	v_add_f16_e32 v14, v27, v29
	v_add_f16_e32 v25, v10, v11
	v_sub_f16_e32 v27, v29, v27
	v_sub_f16_e32 v10, v11, v10
	v_add_f16_e32 v11, v15, v17
	v_add_f16_e32 v29, v34, v26
	v_sub_f16_e32 v41, v37, v5
	v_add_f16_e32 v42, v19, v40
	v_add_f16_e32 v5, v5, v37
	v_sub_f16_e32 v19, v40, v19
	v_sub_f16_e32 v35, v15, v17
	;; [unrolled: 1-line block ×7, first 2 shown]
	v_add_f16_e32 v37, v27, v23
	v_add_f16_e32 v40, v10, v9
	v_sub_f16_e32 v43, v27, v23
	v_sub_f16_e32 v44, v10, v9
	;; [unrolled: 1-line block ×4, first 2 shown]
	v_add_f16_e32 v11, v14, v11
	v_add_f16_e32 v14, v25, v29
	v_sub_f16_e32 v27, v18, v27
	v_sub_f16_e32 v10, v8, v10
	v_add_f16_e32 v18, v37, v18
	v_add_f16_e32 v8, v40, v8
	v_add_f16_e32 v25, v11, v16
	v_add_f16_sdwa v16, v14, v16 dst_sel:DWORD dst_unused:UNUSED_PAD src0_sel:DWORD src1_sel:WORD_1
	v_mul_f16_e32 v17, 0x3a52, v17
	v_mul_f16_e32 v26, 0x3a52, v26
	;; [unrolled: 1-line block ×8, first 2 shown]
	v_fma_f16 v11, v11, s6, v25
	v_fma_f16 v14, v14, s6, v16
	;; [unrolled: 1-line block ×4, first 2 shown]
	v_fma_f16 v29, v35, s7, -v29
	v_fma_f16 v37, v36, s7, -v37
	;; [unrolled: 1-line block ×4, first 2 shown]
	v_fma_f16 v35, v27, s11, v40
	v_fma_f16 v36, v10, s11, v43
	v_fma_f16 v23, v23, s5, -v40
	v_fma_f16 v9, v9, s5, -v43
	;; [unrolled: 1-line block ×4, first 2 shown]
	v_add_f16_e32 v15, v15, v11
	v_add_f16_e32 v34, v34, v14
	;; [unrolled: 1-line block ×6, first 2 shown]
	v_fma_f16 v17, v18, s13, v35
	v_fma_f16 v26, v8, s13, v36
	;; [unrolled: 1-line block ×6, first 2 shown]
	v_add_f16_e32 v35, v8, v11
	v_sub_f16_e32 v36, v14, v18
	v_sub_f16_e32 v8, v11, v8
	v_add_f16_e32 v11, v18, v14
	v_pack_b32_f16 v6, v6, v24
	v_pack_b32_f16 v18, v38, v39
	ds_write2_b32 v32, v6, v18 offset0:42 offset1:212
	v_pack_b32_f16 v6, v41, v42
	v_pack_b32_f16 v5, v5, v19
	v_add_u32_e32 v18, 0x700, v1
	ds_write2_b32 v18, v6, v5 offset0:62 offset1:232
	v_pack_b32_f16 v4, v4, v7
	v_pack_b32_f16 v5, v12, v13
	v_add_f16_e32 v10, v26, v15
	v_sub_f16_e32 v27, v34, v17
	v_sub_f16_e32 v14, v15, v26
	v_add_f16_e32 v15, v17, v34
	v_pack_b32_f16 v17, v28, v30
	ds_write2_b32 v33, v4, v5 offset0:82 offset1:252
	v_pack_b32_f16 v4, v25, v16
	v_sub_f16_e32 v40, v29, v9
	v_add_f16_e32 v43, v23, v37
	v_add_f16_e32 v9, v9, v29
	v_sub_f16_e32 v23, v37, v23
	ds_write2_b32 v1, v17, v4 offset1:85
	v_pack_b32_f16 v1, v10, v27
	v_pack_b32_f16 v4, v35, v36
	v_add_u32_e32 v5, 0x300, v31
	ds_write2_b32 v5, v1, v4 offset0:63 offset1:233
	v_pack_b32_f16 v1, v40, v43
	v_pack_b32_f16 v4, v9, v23
	v_add_u32_e32 v5, 0x800, v31
	ds_write2_b32 v5, v1, v4 offset0:83 offset1:253
	v_pack_b32_f16 v1, v8, v11
	v_pack_b32_f16 v4, v14, v15
	v_add_u32_e32 v5, 0xe00, v31
	ds_write2_b32 v5, v1, v4 offset0:39 offset1:209
	s_waitcnt lgkmcnt(0)
	s_barrier
	ds_read_b32 v10, v20
	s_add_u32 s6, s8, 0x1254
	s_addc_u32 s7, s9, 0
	v_sub_u32_e32 v6, v22, v21
                                        ; implicit-def: $vgpr8
                                        ; implicit-def: $vgpr7
                                        ; implicit-def: $vgpr9
                                        ; implicit-def: $vgpr4_vgpr5
	s_and_saveexec_b64 s[4:5], vcc
	s_xor_b64 s[4:5], exec, s[4:5]
	s_cbranch_execz .LBB0_18
; %bb.17:
	v_mov_b32_e32 v1, 0
	v_lshlrev_b64 v[4:5], 2, v[0:1]
	v_mov_b32_e32 v7, s7
	v_add_co_u32_e32 v4, vcc, s6, v4
	v_addc_co_u32_e32 v5, vcc, v7, v5, vcc
	global_load_dword v4, v[4:5], off
	ds_read_b32 v5, v6 offset:4760
	s_mov_b32 s8, 0xffff
                                        ; implicit-def: $vgpr22
	s_waitcnt lgkmcnt(0)
	v_pk_add_f16 v7, v10, v5 neg_lo:[0,1] neg_hi:[0,1]
	v_pk_add_f16 v5, v5, v10
	v_bfi_b32 v8, s8, v7, v5
	v_bfi_b32 v5, s8, v5, v7
	v_pk_mul_f16 v7, v8, 0.5 op_sel_hi:[1,0]
	v_pk_mul_f16 v8, v5, 0.5 op_sel_hi:[1,0]
	s_waitcnt vmcnt(0)
	v_pk_mul_f16 v9, v4, v7 op_sel:[1,0]
	v_pk_mul_f16 v4, v4, v7 op_sel_hi:[0,1]
	v_pk_fma_f16 v5, v5, 0.5, v9 op_sel_hi:[1,0,1]
	v_sub_f16_e32 v7, v8, v9
	v_sub_f16_sdwa v8, v9, v8 dst_sel:DWORD dst_unused:UNUSED_PAD src0_sel:WORD_1 src1_sel:WORD_1
	v_pk_add_f16 v10, v5, v4 op_sel:[0,1] op_sel_hi:[1,0]
	v_pk_add_f16 v5, v5, v4 op_sel:[0,1] op_sel_hi:[1,0] neg_lo:[0,1] neg_hi:[0,1]
	v_sub_f16_sdwa v7, v7, v4 dst_sel:DWORD dst_unused:UNUSED_PAD src0_sel:DWORD src1_sel:WORD_1
	v_sub_f16_e32 v9, v8, v4
	v_bfi_b32 v8, s8, v10, v5
	v_mov_b32_e32 v5, v1
	v_mov_b32_e32 v4, v0
                                        ; implicit-def: $vgpr10
.LBB0_18:
	s_andn2_saveexec_b64 s[4:5], s[4:5]
	s_cbranch_execz .LBB0_20
; %bb.19:
	ds_read_u16 v1, v22 offset:2382
	s_waitcnt lgkmcnt(1)
	v_alignbit_b32 v4, s0, v10, 16
	v_pk_add_f16 v4, v4, v10
	v_pack_b32_f16 v8, v4, 0
	v_mov_b32_e32 v4, 0
	v_sub_f16_sdwa v7, v10, v10 dst_sel:DWORD dst_unused:UNUSED_PAD src0_sel:DWORD src1_sel:WORD_1
	s_waitcnt lgkmcnt(0)
	v_xor_b32_e32 v1, 0x8000, v1
	v_mov_b32_e32 v5, 0
	v_mov_b32_e32 v9, 0
	ds_write_b16 v22, v1 offset:2382
.LBB0_20:
	s_or_b64 exec, exec, s[4:5]
	v_lshlrev_b64 v[4:5], 2, v[4:5]
	v_mov_b32_e32 v1, s7
	s_waitcnt lgkmcnt(0)
	v_add_co_u32_e32 v10, vcc, s6, v4
	v_addc_co_u32_e32 v11, vcc, v1, v5, vcc
	global_load_dword v1, v[10:11], off offset:340
	global_load_dword v12, v[10:11], off offset:680
	;; [unrolled: 1-line block ×3, first 2 shown]
	ds_write_b16 v6, v9 offset:4762
	ds_write_b32 v20, v8
	ds_write_b16 v6, v7 offset:4760
	ds_read_b32 v7, v20 offset:340
	ds_read_b32 v8, v6 offset:4420
	global_load_dword v9, v[10:11], off offset:1360
	global_load_dword v14, v[10:11], off offset:1700
	;; [unrolled: 1-line block ×3, first 2 shown]
	s_mov_b32 s4, 0xffff
	s_waitcnt lgkmcnt(0)
	v_pk_add_f16 v10, v7, v8 neg_lo:[0,1] neg_hi:[0,1]
	v_pk_add_f16 v7, v7, v8
	v_bfi_b32 v8, s4, v10, v7
	v_bfi_b32 v7, s4, v7, v10
	v_pk_mul_f16 v8, v8, 0.5 op_sel_hi:[1,0]
	v_pk_mul_f16 v7, v7, 0.5 op_sel_hi:[1,0]
	s_waitcnt vmcnt(5)
	v_pk_fma_f16 v10, v1, v8, v7 op_sel:[1,0,0]
	v_pk_mul_f16 v11, v1, v8 op_sel_hi:[0,1]
	v_pk_fma_f16 v16, v1, v8, v7 op_sel:[1,0,0] neg_lo:[1,0,0] neg_hi:[1,0,0]
	v_pk_fma_f16 v1, v1, v8, v7 op_sel:[1,0,0] neg_lo:[0,0,1] neg_hi:[0,0,1]
	v_pk_add_f16 v7, v10, v11 op_sel:[0,1] op_sel_hi:[1,0]
	v_pk_add_f16 v8, v10, v11 op_sel:[0,1] op_sel_hi:[1,0] neg_lo:[0,1] neg_hi:[0,1]
	v_pk_add_f16 v10, v16, v11 op_sel:[0,1] op_sel_hi:[1,0] neg_lo:[0,1] neg_hi:[0,1]
	;; [unrolled: 1-line block ×3, first 2 shown]
	v_bfi_b32 v7, s4, v7, v8
	v_bfi_b32 v1, s4, v10, v1
	ds_write_b32 v20, v7 offset:340
	ds_write_b32 v6, v1 offset:4420
	ds_read_b32 v1, v20 offset:680
	ds_read_b32 v7, v6 offset:4080
	s_waitcnt lgkmcnt(0)
	v_pk_add_f16 v8, v1, v7 neg_lo:[0,1] neg_hi:[0,1]
	v_pk_add_f16 v1, v1, v7
	v_bfi_b32 v7, s4, v8, v1
	v_bfi_b32 v1, s4, v1, v8
	v_pk_mul_f16 v7, v7, 0.5 op_sel_hi:[1,0]
	v_pk_mul_f16 v8, v1, 0.5 op_sel_hi:[1,0]
	s_waitcnt vmcnt(4)
	v_pk_mul_f16 v10, v12, v7 op_sel:[1,0]
	v_pk_mul_f16 v7, v12, v7 op_sel_hi:[0,1]
	v_pk_fma_f16 v1, v1, 0.5, v10 op_sel_hi:[1,0,1]
	v_sub_f16_e32 v11, v8, v10
	v_sub_f16_sdwa v8, v10, v8 dst_sel:DWORD dst_unused:UNUSED_PAD src0_sel:WORD_1 src1_sel:WORD_1
	v_pk_add_f16 v10, v1, v7 op_sel:[0,1] op_sel_hi:[1,0]
	v_pk_add_f16 v1, v1, v7 op_sel:[0,1] op_sel_hi:[1,0] neg_lo:[0,1] neg_hi:[0,1]
	v_sub_f16_sdwa v11, v11, v7 dst_sel:DWORD dst_unused:UNUSED_PAD src0_sel:DWORD src1_sel:WORD_1
	v_sub_f16_e32 v7, v8, v7
	v_bfi_b32 v1, s4, v10, v1
	ds_write_b16 v6, v7 offset:4082
	ds_write_b32 v20, v1 offset:680
	ds_write_b16 v6, v11 offset:4080
	ds_read_b32 v1, v20 offset:1020
	ds_read_b32 v7, v6 offset:3740
	s_waitcnt lgkmcnt(0)
	v_pk_add_f16 v8, v1, v7 neg_lo:[0,1] neg_hi:[0,1]
	v_pk_add_f16 v1, v1, v7
	v_bfi_b32 v7, s4, v8, v1
	v_bfi_b32 v1, s4, v1, v8
	v_pk_mul_f16 v7, v7, 0.5 op_sel_hi:[1,0]
	v_pk_mul_f16 v8, v1, 0.5 op_sel_hi:[1,0]
	s_waitcnt vmcnt(3)
	v_pk_mul_f16 v10, v13, v7 op_sel:[1,0]
	v_pk_mul_f16 v7, v13, v7 op_sel_hi:[0,1]
	v_pk_fma_f16 v1, v1, 0.5, v10 op_sel_hi:[1,0,1]
	v_sub_f16_e32 v11, v8, v10
	v_sub_f16_sdwa v8, v10, v8 dst_sel:DWORD dst_unused:UNUSED_PAD src0_sel:WORD_1 src1_sel:WORD_1
	v_pk_add_f16 v10, v1, v7 op_sel:[0,1] op_sel_hi:[1,0]
	v_pk_add_f16 v1, v1, v7 op_sel:[0,1] op_sel_hi:[1,0] neg_lo:[0,1] neg_hi:[0,1]
	v_sub_f16_sdwa v11, v11, v7 dst_sel:DWORD dst_unused:UNUSED_PAD src0_sel:DWORD src1_sel:WORD_1
	v_sub_f16_e32 v7, v8, v7
	v_bfi_b32 v1, s4, v10, v1
	ds_write_b16 v6, v7 offset:3742
	ds_write_b32 v20, v1 offset:1020
	ds_write_b16 v6, v11 offset:3740
	;; [unrolled: 23-line block ×4, first 2 shown]
	ds_read_b32 v1, v20 offset:2040
	ds_read_b32 v7, v6 offset:2720
	s_waitcnt lgkmcnt(0)
	v_pk_add_f16 v8, v1, v7 neg_lo:[0,1] neg_hi:[0,1]
	v_pk_add_f16 v1, v1, v7
	v_bfi_b32 v7, s4, v8, v1
	v_bfi_b32 v1, s4, v1, v8
	v_pk_mul_f16 v7, v7, 0.5 op_sel_hi:[1,0]
	v_pk_mul_f16 v1, v1, 0.5 op_sel_hi:[1,0]
	s_waitcnt vmcnt(0)
	v_pk_fma_f16 v8, v15, v7, v1 op_sel:[1,0,0]
	v_pk_mul_f16 v9, v15, v7 op_sel_hi:[0,1]
	v_pk_fma_f16 v10, v15, v7, v1 op_sel:[1,0,0] neg_lo:[1,0,0] neg_hi:[1,0,0]
	v_pk_fma_f16 v1, v15, v7, v1 op_sel:[1,0,0] neg_lo:[0,0,1] neg_hi:[0,0,1]
	v_pk_add_f16 v7, v8, v9 op_sel:[0,1] op_sel_hi:[1,0]
	v_pk_add_f16 v8, v8, v9 op_sel:[0,1] op_sel_hi:[1,0] neg_lo:[0,1] neg_hi:[0,1]
	v_pk_add_f16 v10, v10, v9 op_sel:[0,1] op_sel_hi:[1,0] neg_lo:[0,1] neg_hi:[0,1]
	;; [unrolled: 1-line block ×3, first 2 shown]
	v_bfi_b32 v7, s4, v7, v8
	v_bfi_b32 v1, s4, v10, v1
	ds_write_b32 v20, v7 offset:2040
	ds_write_b32 v6, v1 offset:2720
	s_waitcnt lgkmcnt(0)
	s_barrier
	s_and_saveexec_b64 s[4:5], s[0:1]
	s_cbranch_execz .LBB0_23
; %bb.21:
	ds_read2_b32 v[6:7], v20 offset1:85
	v_mov_b32_e32 v1, s3
	v_add_co_u32_e32 v2, vcc, s2, v2
	v_addc_co_u32_e32 v1, vcc, v1, v3, vcc
	v_add_co_u32_e32 v3, vcc, v2, v4
	v_addc_co_u32_e32 v4, vcc, v1, v5, vcc
	s_waitcnt lgkmcnt(0)
	global_store_dword v[3:4], v6, off
	global_store_dword v[3:4], v7, off offset:340
	ds_read2_b32 v[5:6], v20 offset0:170 offset1:255
	v_add_u32_e32 v7, 0x400, v20
	ds_read2_b32 v[7:8], v7 offset0:84 offset1:169
	v_add_u32_e32 v9, 0x600, v20
	ds_read2_b32 v[9:10], v9 offset0:126 offset1:211
	s_waitcnt lgkmcnt(2)
	global_store_dword v[3:4], v5, off offset:680
	global_store_dword v[3:4], v6, off offset:1020
	s_waitcnt lgkmcnt(1)
	global_store_dword v[3:4], v7, off offset:1360
	global_store_dword v[3:4], v8, off offset:1700
	;; [unrolled: 3-line block ×3, first 2 shown]
	v_add_u32_e32 v5, 0x800, v20
	ds_read2_b32 v[5:6], v5 offset0:168 offset1:253
	v_add_u32_e32 v7, 0xc00, v20
	ds_read2_b32 v[7:8], v7 offset0:82 offset1:167
	;; [unrolled: 2-line block ×3, first 2 shown]
	s_waitcnt lgkmcnt(2)
	global_store_dword v[3:4], v5, off offset:2720
	global_store_dword v[3:4], v6, off offset:3060
	s_waitcnt lgkmcnt(1)
	global_store_dword v[3:4], v7, off offset:3400
	global_store_dword v[3:4], v8, off offset:3740
	s_waitcnt lgkmcnt(0)
	global_store_dword v[3:4], v9, off offset:4080
	v_add_co_u32_e32 v3, vcc, 0x1000, v3
	v_addc_co_u32_e32 v4, vcc, 0, v4, vcc
	s_movk_i32 s0, 0x54
	v_cmp_eq_u32_e32 vcc, s0, v0
	global_store_dword v[3:4], v10, off offset:324
	s_and_b64 exec, exec, vcc
	s_cbranch_execz .LBB0_23
; %bb.22:
	ds_read_b32 v3, v20 offset:4424
	v_add_co_u32_e32 v0, vcc, 0x1000, v2
	v_addc_co_u32_e32 v1, vcc, 0, v1, vcc
	s_waitcnt lgkmcnt(0)
	global_store_dword v[0:1], v3, off offset:664
.LBB0_23:
	s_endpgm
	.section	.rodata,"a",@progbits
	.p2align	6, 0x0
	.amdhsa_kernel fft_rtc_fwd_len1190_factors_17_2_5_7_wgs_255_tpt_85_halfLds_half_ip_CI_unitstride_sbrr_R2C_dirReg
		.amdhsa_group_segment_fixed_size 0
		.amdhsa_private_segment_fixed_size 0
		.amdhsa_kernarg_size 88
		.amdhsa_user_sgpr_count 6
		.amdhsa_user_sgpr_private_segment_buffer 1
		.amdhsa_user_sgpr_dispatch_ptr 0
		.amdhsa_user_sgpr_queue_ptr 0
		.amdhsa_user_sgpr_kernarg_segment_ptr 1
		.amdhsa_user_sgpr_dispatch_id 0
		.amdhsa_user_sgpr_flat_scratch_init 0
		.amdhsa_user_sgpr_private_segment_size 0
		.amdhsa_uses_dynamic_stack 0
		.amdhsa_system_sgpr_private_segment_wavefront_offset 0
		.amdhsa_system_sgpr_workgroup_id_x 1
		.amdhsa_system_sgpr_workgroup_id_y 0
		.amdhsa_system_sgpr_workgroup_id_z 0
		.amdhsa_system_sgpr_workgroup_info 0
		.amdhsa_system_vgpr_workitem_id 0
		.amdhsa_next_free_vgpr 146
		.amdhsa_next_free_sgpr 34
		.amdhsa_reserve_vcc 1
		.amdhsa_reserve_flat_scratch 0
		.amdhsa_float_round_mode_32 0
		.amdhsa_float_round_mode_16_64 0
		.amdhsa_float_denorm_mode_32 3
		.amdhsa_float_denorm_mode_16_64 3
		.amdhsa_dx10_clamp 1
		.amdhsa_ieee_mode 1
		.amdhsa_fp16_overflow 0
		.amdhsa_exception_fp_ieee_invalid_op 0
		.amdhsa_exception_fp_denorm_src 0
		.amdhsa_exception_fp_ieee_div_zero 0
		.amdhsa_exception_fp_ieee_overflow 0
		.amdhsa_exception_fp_ieee_underflow 0
		.amdhsa_exception_fp_ieee_inexact 0
		.amdhsa_exception_int_div_zero 0
	.end_amdhsa_kernel
	.text
.Lfunc_end0:
	.size	fft_rtc_fwd_len1190_factors_17_2_5_7_wgs_255_tpt_85_halfLds_half_ip_CI_unitstride_sbrr_R2C_dirReg, .Lfunc_end0-fft_rtc_fwd_len1190_factors_17_2_5_7_wgs_255_tpt_85_halfLds_half_ip_CI_unitstride_sbrr_R2C_dirReg
                                        ; -- End function
	.section	.AMDGPU.csdata,"",@progbits
; Kernel info:
; codeLenInByte = 12640
; NumSgprs: 38
; NumVgprs: 146
; ScratchSize: 0
; MemoryBound: 0
; FloatMode: 240
; IeeeMode: 1
; LDSByteSize: 0 bytes/workgroup (compile time only)
; SGPRBlocks: 4
; VGPRBlocks: 36
; NumSGPRsForWavesPerEU: 38
; NumVGPRsForWavesPerEU: 146
; Occupancy: 1
; WaveLimiterHint : 1
; COMPUTE_PGM_RSRC2:SCRATCH_EN: 0
; COMPUTE_PGM_RSRC2:USER_SGPR: 6
; COMPUTE_PGM_RSRC2:TRAP_HANDLER: 0
; COMPUTE_PGM_RSRC2:TGID_X_EN: 1
; COMPUTE_PGM_RSRC2:TGID_Y_EN: 0
; COMPUTE_PGM_RSRC2:TGID_Z_EN: 0
; COMPUTE_PGM_RSRC2:TIDIG_COMP_CNT: 0
	.type	__hip_cuid_4d1112e0d92c6033,@object ; @__hip_cuid_4d1112e0d92c6033
	.section	.bss,"aw",@nobits
	.globl	__hip_cuid_4d1112e0d92c6033
__hip_cuid_4d1112e0d92c6033:
	.byte	0                               ; 0x0
	.size	__hip_cuid_4d1112e0d92c6033, 1

	.ident	"AMD clang version 19.0.0git (https://github.com/RadeonOpenCompute/llvm-project roc-6.4.0 25133 c7fe45cf4b819c5991fe208aaa96edf142730f1d)"
	.section	".note.GNU-stack","",@progbits
	.addrsig
	.addrsig_sym __hip_cuid_4d1112e0d92c6033
	.amdgpu_metadata
---
amdhsa.kernels:
  - .args:
      - .actual_access:  read_only
        .address_space:  global
        .offset:         0
        .size:           8
        .value_kind:     global_buffer
      - .offset:         8
        .size:           8
        .value_kind:     by_value
      - .actual_access:  read_only
        .address_space:  global
        .offset:         16
        .size:           8
        .value_kind:     global_buffer
      - .actual_access:  read_only
        .address_space:  global
        .offset:         24
        .size:           8
        .value_kind:     global_buffer
      - .offset:         32
        .size:           8
        .value_kind:     by_value
      - .actual_access:  read_only
        .address_space:  global
        .offset:         40
        .size:           8
        .value_kind:     global_buffer
      - .actual_access:  read_only
        .address_space:  global
        .offset:         48
        .size:           8
        .value_kind:     global_buffer
      - .offset:         56
        .size:           4
        .value_kind:     by_value
      - .actual_access:  read_only
        .address_space:  global
        .offset:         64
        .size:           8
        .value_kind:     global_buffer
      - .actual_access:  read_only
        .address_space:  global
        .offset:         72
        .size:           8
        .value_kind:     global_buffer
      - .address_space:  global
        .offset:         80
        .size:           8
        .value_kind:     global_buffer
    .group_segment_fixed_size: 0
    .kernarg_segment_align: 8
    .kernarg_segment_size: 88
    .language:       OpenCL C
    .language_version:
      - 2
      - 0
    .max_flat_workgroup_size: 255
    .name:           fft_rtc_fwd_len1190_factors_17_2_5_7_wgs_255_tpt_85_halfLds_half_ip_CI_unitstride_sbrr_R2C_dirReg
    .private_segment_fixed_size: 0
    .sgpr_count:     38
    .sgpr_spill_count: 0
    .symbol:         fft_rtc_fwd_len1190_factors_17_2_5_7_wgs_255_tpt_85_halfLds_half_ip_CI_unitstride_sbrr_R2C_dirReg.kd
    .uniform_work_group_size: 1
    .uses_dynamic_stack: false
    .vgpr_count:     146
    .vgpr_spill_count: 0
    .wavefront_size: 64
amdhsa.target:   amdgcn-amd-amdhsa--gfx906
amdhsa.version:
  - 1
  - 2
...

	.end_amdgpu_metadata
